;; amdgpu-corpus repo=ROCm/rocFFT kind=compiled arch=gfx1030 opt=O3
	.text
	.amdgcn_target "amdgcn-amd-amdhsa--gfx1030"
	.amdhsa_code_object_version 6
	.protected	fft_rtc_fwd_len1014_factors_13_6_13_wgs_156_tpt_78_half_ip_CI_unitstride_sbrr_R2C_dirReg ; -- Begin function fft_rtc_fwd_len1014_factors_13_6_13_wgs_156_tpt_78_half_ip_CI_unitstride_sbrr_R2C_dirReg
	.globl	fft_rtc_fwd_len1014_factors_13_6_13_wgs_156_tpt_78_half_ip_CI_unitstride_sbrr_R2C_dirReg
	.p2align	8
	.type	fft_rtc_fwd_len1014_factors_13_6_13_wgs_156_tpt_78_half_ip_CI_unitstride_sbrr_R2C_dirReg,@function
fft_rtc_fwd_len1014_factors_13_6_13_wgs_156_tpt_78_half_ip_CI_unitstride_sbrr_R2C_dirReg: ; @fft_rtc_fwd_len1014_factors_13_6_13_wgs_156_tpt_78_half_ip_CI_unitstride_sbrr_R2C_dirReg
; %bb.0:
	s_clause 0x2
	s_load_dwordx4 s[8:11], s[4:5], 0x0
	s_load_dwordx2 s[2:3], s[4:5], 0x50
	s_load_dwordx2 s[12:13], s[4:5], 0x18
	v_mul_u32_u24_e32 v1, 0x349, v0
	v_mov_b32_e32 v3, 0
	v_lshrrev_b32_e32 v9, 16, v1
	v_mov_b32_e32 v1, 0
	v_mov_b32_e32 v6, v3
	v_mov_b32_e32 v2, 0
	v_lshl_add_u32 v5, s6, 1, v9
	s_waitcnt lgkmcnt(0)
	v_cmp_lt_u64_e64 s0, s[10:11], 2
	s_and_b32 vcc_lo, exec_lo, s0
	s_cbranch_vccnz .LBB0_8
; %bb.1:
	s_load_dwordx2 s[0:1], s[4:5], 0x10
	v_mov_b32_e32 v1, 0
	s_add_u32 s6, s12, 8
	v_mov_b32_e32 v2, 0
	s_addc_u32 s7, s13, 0
	s_mov_b64 s[16:17], 1
	s_waitcnt lgkmcnt(0)
	s_add_u32 s14, s0, 8
	s_addc_u32 s15, s1, 0
.LBB0_2:                                ; =>This Inner Loop Header: Depth=1
	s_load_dwordx2 s[18:19], s[14:15], 0x0
                                        ; implicit-def: $vgpr7_vgpr8
	s_mov_b32 s0, exec_lo
	s_waitcnt lgkmcnt(0)
	v_or_b32_e32 v4, s19, v6
	v_cmpx_ne_u64_e32 0, v[3:4]
	s_xor_b32 s1, exec_lo, s0
	s_cbranch_execz .LBB0_4
; %bb.3:                                ;   in Loop: Header=BB0_2 Depth=1
	v_cvt_f32_u32_e32 v4, s18
	v_cvt_f32_u32_e32 v7, s19
	s_sub_u32 s0, 0, s18
	s_subb_u32 s20, 0, s19
	v_fmac_f32_e32 v4, 0x4f800000, v7
	v_rcp_f32_e32 v4, v4
	v_mul_f32_e32 v4, 0x5f7ffffc, v4
	v_mul_f32_e32 v7, 0x2f800000, v4
	v_trunc_f32_e32 v7, v7
	v_fmac_f32_e32 v4, 0xcf800000, v7
	v_cvt_u32_f32_e32 v7, v7
	v_cvt_u32_f32_e32 v4, v4
	v_mul_lo_u32 v8, s0, v7
	v_mul_hi_u32 v10, s0, v4
	v_mul_lo_u32 v11, s20, v4
	v_add_nc_u32_e32 v8, v10, v8
	v_mul_lo_u32 v10, s0, v4
	v_add_nc_u32_e32 v8, v8, v11
	v_mul_hi_u32 v11, v4, v10
	v_mul_lo_u32 v12, v4, v8
	v_mul_hi_u32 v13, v4, v8
	v_mul_hi_u32 v14, v7, v10
	v_mul_lo_u32 v10, v7, v10
	v_mul_hi_u32 v15, v7, v8
	v_mul_lo_u32 v8, v7, v8
	v_add_co_u32 v11, vcc_lo, v11, v12
	v_add_co_ci_u32_e32 v12, vcc_lo, 0, v13, vcc_lo
	v_add_co_u32 v10, vcc_lo, v11, v10
	v_add_co_ci_u32_e32 v10, vcc_lo, v12, v14, vcc_lo
	v_add_co_ci_u32_e32 v11, vcc_lo, 0, v15, vcc_lo
	v_add_co_u32 v8, vcc_lo, v10, v8
	v_add_co_ci_u32_e32 v10, vcc_lo, 0, v11, vcc_lo
	v_add_co_u32 v4, vcc_lo, v4, v8
	v_add_co_ci_u32_e32 v7, vcc_lo, v7, v10, vcc_lo
	v_mul_hi_u32 v8, s0, v4
	v_mul_lo_u32 v11, s20, v4
	v_mul_lo_u32 v10, s0, v7
	v_add_nc_u32_e32 v8, v8, v10
	v_mul_lo_u32 v10, s0, v4
	v_add_nc_u32_e32 v8, v8, v11
	v_mul_hi_u32 v11, v4, v10
	v_mul_lo_u32 v12, v4, v8
	v_mul_hi_u32 v13, v4, v8
	v_mul_hi_u32 v14, v7, v10
	v_mul_lo_u32 v10, v7, v10
	v_mul_hi_u32 v15, v7, v8
	v_mul_lo_u32 v8, v7, v8
	v_add_co_u32 v11, vcc_lo, v11, v12
	v_add_co_ci_u32_e32 v12, vcc_lo, 0, v13, vcc_lo
	v_add_co_u32 v10, vcc_lo, v11, v10
	v_add_co_ci_u32_e32 v10, vcc_lo, v12, v14, vcc_lo
	v_add_co_ci_u32_e32 v11, vcc_lo, 0, v15, vcc_lo
	v_add_co_u32 v8, vcc_lo, v10, v8
	v_add_co_ci_u32_e32 v10, vcc_lo, 0, v11, vcc_lo
	v_add_co_u32 v4, vcc_lo, v4, v8
	v_add_co_ci_u32_e32 v12, vcc_lo, v7, v10, vcc_lo
	v_mul_hi_u32 v14, v5, v4
	v_mad_u64_u32 v[10:11], null, v6, v4, 0
	v_mad_u64_u32 v[7:8], null, v5, v12, 0
	;; [unrolled: 1-line block ×3, first 2 shown]
	v_add_co_u32 v4, vcc_lo, v14, v7
	v_add_co_ci_u32_e32 v7, vcc_lo, 0, v8, vcc_lo
	v_add_co_u32 v4, vcc_lo, v4, v10
	v_add_co_ci_u32_e32 v4, vcc_lo, v7, v11, vcc_lo
	v_add_co_ci_u32_e32 v7, vcc_lo, 0, v13, vcc_lo
	v_add_co_u32 v4, vcc_lo, v4, v12
	v_add_co_ci_u32_e32 v10, vcc_lo, 0, v7, vcc_lo
	v_mul_lo_u32 v11, s19, v4
	v_mad_u64_u32 v[7:8], null, s18, v4, 0
	v_mul_lo_u32 v12, s18, v10
	v_sub_co_u32 v7, vcc_lo, v5, v7
	v_add3_u32 v8, v8, v12, v11
	v_sub_nc_u32_e32 v11, v6, v8
	v_subrev_co_ci_u32_e64 v11, s0, s19, v11, vcc_lo
	v_add_co_u32 v12, s0, v4, 2
	v_add_co_ci_u32_e64 v13, s0, 0, v10, s0
	v_sub_co_u32 v14, s0, v7, s18
	v_sub_co_ci_u32_e32 v8, vcc_lo, v6, v8, vcc_lo
	v_subrev_co_ci_u32_e64 v11, s0, 0, v11, s0
	v_cmp_le_u32_e32 vcc_lo, s18, v14
	v_cmp_eq_u32_e64 s0, s19, v8
	v_cndmask_b32_e64 v14, 0, -1, vcc_lo
	v_cmp_le_u32_e32 vcc_lo, s19, v11
	v_cndmask_b32_e64 v15, 0, -1, vcc_lo
	v_cmp_le_u32_e32 vcc_lo, s18, v7
	;; [unrolled: 2-line block ×3, first 2 shown]
	v_cndmask_b32_e64 v16, 0, -1, vcc_lo
	v_cmp_eq_u32_e32 vcc_lo, s19, v11
	v_cndmask_b32_e64 v7, v16, v7, s0
	v_cndmask_b32_e32 v11, v15, v14, vcc_lo
	v_add_co_u32 v14, vcc_lo, v4, 1
	v_add_co_ci_u32_e32 v15, vcc_lo, 0, v10, vcc_lo
	v_cmp_ne_u32_e32 vcc_lo, 0, v11
	v_cndmask_b32_e32 v8, v15, v13, vcc_lo
	v_cndmask_b32_e32 v11, v14, v12, vcc_lo
	v_cmp_ne_u32_e32 vcc_lo, 0, v7
	v_cndmask_b32_e32 v8, v10, v8, vcc_lo
	v_cndmask_b32_e32 v7, v4, v11, vcc_lo
.LBB0_4:                                ;   in Loop: Header=BB0_2 Depth=1
	s_andn2_saveexec_b32 s0, s1
	s_cbranch_execz .LBB0_6
; %bb.5:                                ;   in Loop: Header=BB0_2 Depth=1
	v_cvt_f32_u32_e32 v4, s18
	s_sub_i32 s1, 0, s18
	v_rcp_iflag_f32_e32 v4, v4
	v_mul_f32_e32 v4, 0x4f7ffffe, v4
	v_cvt_u32_f32_e32 v4, v4
	v_mul_lo_u32 v7, s1, v4
	v_mul_hi_u32 v7, v4, v7
	v_add_nc_u32_e32 v4, v4, v7
	v_mul_hi_u32 v4, v5, v4
	v_mul_lo_u32 v7, v4, s18
	v_add_nc_u32_e32 v8, 1, v4
	v_sub_nc_u32_e32 v7, v5, v7
	v_subrev_nc_u32_e32 v10, s18, v7
	v_cmp_le_u32_e32 vcc_lo, s18, v7
	v_cndmask_b32_e32 v7, v7, v10, vcc_lo
	v_cndmask_b32_e32 v4, v4, v8, vcc_lo
	v_cmp_le_u32_e32 vcc_lo, s18, v7
	v_add_nc_u32_e32 v8, 1, v4
	v_cndmask_b32_e32 v7, v4, v8, vcc_lo
	v_mov_b32_e32 v8, v3
.LBB0_6:                                ;   in Loop: Header=BB0_2 Depth=1
	s_or_b32 exec_lo, exec_lo, s0
	s_load_dwordx2 s[0:1], s[6:7], 0x0
	v_mul_lo_u32 v4, v8, s18
	v_mul_lo_u32 v12, v7, s19
	v_mad_u64_u32 v[10:11], null, v7, s18, 0
	s_add_u32 s16, s16, 1
	s_addc_u32 s17, s17, 0
	s_add_u32 s6, s6, 8
	s_addc_u32 s7, s7, 0
	;; [unrolled: 2-line block ×3, first 2 shown]
	v_add3_u32 v4, v11, v12, v4
	v_sub_co_u32 v5, vcc_lo, v5, v10
	v_sub_co_ci_u32_e32 v4, vcc_lo, v6, v4, vcc_lo
	s_waitcnt lgkmcnt(0)
	v_mul_lo_u32 v6, s1, v5
	v_mul_lo_u32 v4, s0, v4
	v_mad_u64_u32 v[1:2], null, s0, v5, v[1:2]
	v_cmp_ge_u64_e64 s0, s[16:17], s[10:11]
	s_and_b32 vcc_lo, exec_lo, s0
	v_add3_u32 v2, v6, v2, v4
	s_cbranch_vccnz .LBB0_9
; %bb.7:                                ;   in Loop: Header=BB0_2 Depth=1
	v_mov_b32_e32 v5, v7
	v_mov_b32_e32 v6, v8
	s_branch .LBB0_2
.LBB0_8:
	v_mov_b32_e32 v8, v6
	v_mov_b32_e32 v7, v5
.LBB0_9:
	s_lshl_b64 s[0:1], s[10:11], 3
	v_mul_hi_u32 v3, 0x3483484, v0
	s_add_u32 s0, s12, s0
	s_addc_u32 s1, s13, s1
	v_and_b32_e32 v4, 1, v9
	s_load_dwordx2 s[0:1], s[0:1], 0x0
	s_load_dwordx2 s[4:5], s[4:5], 0x20
	v_mul_u32_u24_e32 v3, 0x4e, v3
	v_sub_nc_u32_e32 v0, v0, v3
	v_add_nc_u32_e32 v5, 0x4e, v0
	s_waitcnt lgkmcnt(0)
	v_mul_lo_u32 v6, s0, v8
	v_mul_lo_u32 v9, s1, v7
	v_mad_u64_u32 v[1:2], null, s0, v7, v[1:2]
	v_cmp_gt_u64_e32 vcc_lo, s[4:5], v[7:8]
	v_cmp_le_u64_e64 s1, s[4:5], v[7:8]
	v_cmp_eq_u32_e64 s0, 1, v4
	v_add_nc_u32_e32 v4, 0x9c, v0
	v_add3_u32 v2, v9, v2, v6
	s_and_saveexec_b32 s4, s1
	s_xor_b32 s1, exec_lo, s4
; %bb.10:
	v_add_nc_u32_e32 v5, 0x4e, v0
	v_add_nc_u32_e32 v4, 0x9c, v0
; %bb.11:
	s_or_saveexec_b32 s1, s1
	v_cndmask_b32_e64 v6, 0, 0x3f7, s0
	v_lshlrev_b64 v[2:3], 2, v[1:2]
	v_lshlrev_b32_e32 v22, 2, v0
	v_lshlrev_b32_e32 v24, 2, v6
	s_xor_b32 exec_lo, exec_lo, s1
	s_cbranch_execz .LBB0_13
; %bb.12:
	v_mov_b32_e32 v1, 0
	v_lshlrev_b64 v[6:7], 2, v[0:1]
	v_add_co_u32 v1, s0, s2, v2
	v_add_co_ci_u32_e64 v8, s0, s3, v3, s0
	v_add_co_u32 v6, s0, v1, v6
	v_add_co_ci_u32_e64 v7, s0, v8, v7, s0
	;; [unrolled: 2-line block ×3, first 2 shown]
	s_clause 0xc
	global_load_dword v1, v[6:7], off
	global_load_dword v10, v[6:7], off offset:312
	global_load_dword v11, v[6:7], off offset:624
	;; [unrolled: 1-line block ×12, first 2 shown]
	v_add3_u32 v9, 0, v24, v22
	v_add_nc_u32_e32 v19, 0x400, v9
	v_add_nc_u32_e32 v20, 0x600, v9
	v_add_nc_u32_e32 v21, 0x800, v9
	v_add_nc_u32_e32 v23, 0xc00, v9
	s_waitcnt vmcnt(11)
	ds_write2_b32 v9, v1, v10 offset1:78
	s_waitcnt vmcnt(9)
	ds_write2_b32 v9, v11, v12 offset0:156 offset1:234
	s_waitcnt vmcnt(7)
	ds_write2_b32 v19, v13, v14 offset0:56 offset1:134
	;; [unrolled: 2-line block ×5, first 2 shown]
	s_waitcnt vmcnt(0)
	ds_write_b32 v9, v8 offset:3744
.LBB0_13:
	s_or_b32 exec_lo, exec_lo, s1
	v_add_nc_u32_e32 v21, 0, v24
	v_add3_u32 v1, 0, v22, v24
	s_waitcnt lgkmcnt(0)
	s_barrier
	buffer_gl0_inv
	v_add_nc_u32_e32 v20, v21, v22
	v_add_nc_u32_e32 v6, 0xc00, v1
	;; [unrolled: 1-line block ×4, first 2 shown]
	ds_read2_b32 v[17:18], v1 offset0:78 offset1:156
	ds_read_b32 v9, v20
	ds_read2_b32 v[26:27], v6 offset0:90 offset1:168
	v_add_nc_u32_e32 v7, 0x800, v1
	v_add_nc_u32_e32 v8, 0xa00, v1
	ds_read2_b32 v[28:29], v11 offset0:106 offset1:184
	ds_read2_b32 v[30:31], v25 offset0:134 offset1:212
	;; [unrolled: 1-line block ×4, first 2 shown]
	v_mov_b32_e32 v10, 0xb770
	v_mov_b32_e32 v12, 0xbb7b
	;; [unrolled: 1-line block ×7, first 2 shown]
	s_waitcnt lgkmcnt(0)
	s_barrier
	buffer_gl0_inv
	v_cmp_gt_u32_e64 s0, 13, v0
	v_pk_add_f16 v36, v9, v17
	v_pk_add_f16 v13, v17, v27 neg_lo:[0,1] neg_hi:[0,1]
	v_pk_add_f16 v15, v27, v17
	v_pk_add_f16 v14, v26, v18
	v_pk_add_f16 v11, v18, v26 neg_lo:[0,1] neg_hi:[0,1]
	v_pk_add_f16 v17, v36, v18
	v_mul_f16_sdwa v10, v13, v10 dst_sel:DWORD dst_unused:UNUSED_PAD src0_sel:WORD_1 src1_sel:DWORD
	v_pk_mul_f16 v18, 0x3b15388b, v15
	v_lshrrev_b32_e32 v36, 16, v15
	v_mul_f16_sdwa v40, v13, v12 dst_sel:DWORD dst_unused:UNUSED_PAD src0_sel:WORD_1 src1_sel:DWORD
	v_pk_add_f16 v17, v17, v28
	v_mul_f16_e32 v41, 0xbb7b, v13
	v_mul_f16_sdwa v42, v13, v16 dst_sel:DWORD dst_unused:UNUSED_PAD src0_sel:WORD_1 src1_sel:DWORD
	v_fma_f16 v46, v15, 0x3b15, -v10
	v_fmac_f16_e32 v10, 0x3b15, v15
	v_pk_add_f16 v17, v17, v29
	v_pk_fma_f16 v47, 0xba95b770, v13, v18 op_sel:[0,0,1] op_sel_hi:[1,1,0] neg_lo:[0,1,0] neg_hi:[0,1,0]
	v_pk_fma_f16 v18, 0xba95b770, v13, v18 op_sel:[0,0,1] op_sel_hi:[1,1,0]
	v_mul_f16_e32 v37, 0xba95, v13
	v_mul_f16_sdwa v44, v11, v23 dst_sel:DWORD dst_unused:UNUSED_PAD src0_sel:WORD_1 src1_sel:DWORD
	v_pk_add_f16 v17, v17, v30
	v_pk_mul_f16 v45, 0x388bb5ac, v14
	v_fma_f16 v51, v15, 0xb5ac, -v40
	v_fmamk_f16 v52, v36, 0xb5ac, v41
	v_fmac_f16_e32 v40, 0xb5ac, v15
	v_pk_add_f16 v17, v17, v31
	v_fma_f16 v41, v36, 0xb5ac, -v41
	v_fma_f16 v53, v15, 0xb9fd, -v42
	v_add_f16_e32 v57, v9, v10
	v_bfi_b32 v10, 0xffff, v18, v47
	v_pk_add_f16 v17, v17, v32
	v_mul_f16_e32 v39, 0xbbf1, v13
	v_mul_f16_e32 v43, 0xb94e, v13
	v_fmamk_f16 v48, v36, 0x388b, v37
	v_fma_f16 v55, v14, 0x388b, -v44
	v_pk_add_f16 v17, v17, v33
	v_pk_fma_f16 v56, 0xbb7bba95, v11, v45 op_sel:[0,0,1] op_sel_hi:[1,1,0] neg_lo:[0,1,0] neg_hi:[0,1,0]
	v_pk_fma_f16 v45, 0xbb7bba95, v11, v45 op_sel:[0,0,1] op_sel_hi:[1,1,0]
	v_add_f16_e32 v46, v9, v46
	v_mul_f16_sdwa v38, v13, v19 dst_sel:DWORD dst_unused:UNUSED_PAD src0_sel:WORD_1 src1_sel:DWORD
	v_pk_add_f16 v17, v17, v34
	v_fma_f16 v37, v36, 0x388b, -v37
	v_fmamk_f16 v50, v36, 0x2fb7, v39
	v_fma_f16 v39, v36, 0x2fb7, -v39
	v_fmamk_f16 v54, v36, 0xb9fd, v43
	v_pk_add_f16 v17, v17, v35
	v_add_f16_sdwa v48, v9, v48 dst_sel:DWORD dst_unused:UNUSED_PAD src0_sel:WORD_1 src1_sel:DWORD
	v_fma_f16 v36, v36, 0xb9fd, -v43
	v_add_f16_e32 v43, v55, v46
	v_bfi_b32 v46, 0xffff, v45, v56
	v_pk_add_f16 v17, v17, v26
	v_add_f16_e32 v26, v9, v40
	v_add_f16_sdwa v40, v9, v41 dst_sel:DWORD dst_unused:UNUSED_PAD src0_sel:WORD_1 src1_sel:DWORD
	v_add_f16_e32 v41, v9, v53
	v_pk_add_f16 v53, v9, v10 op_sel:[1,0] op_sel_hi:[0,1]
	v_pk_add_f16 v10, v17, v27
	v_lshrrev_b32_e32 v27, 16, v14
	v_mul_f16_e32 v17, 0xbb7b, v11
	v_fma_f16 v49, v15, 0x2fb7, -v38
	v_add_f16_sdwa v37, v9, v37 dst_sel:DWORD dst_unused:UNUSED_PAD src0_sel:WORD_1 src1_sel:DWORD
	v_fmac_f16_e32 v44, 0x388b, v14
	v_pk_add_f16 v46, v46, v53
	v_fmamk_f16 v55, v27, 0xb5ac, v17
	v_mul_f16_sdwa v53, v11, v58 dst_sel:DWORD dst_unused:UNUSED_PAD src0_sel:WORD_1 src1_sel:DWORD
	v_fma_f16 v17, v27, 0xb5ac, -v17
	v_fmac_f16_e32 v38, 0x2fb7, v15
	v_pk_add_f16 v18, v9, v18 op_sel:[1,0] op_sel_hi:[0,1]
	v_add_f16_e32 v48, v55, v48
	v_mul_f16_e32 v55, 0xb3a8, v11
	v_add_f16_e32 v49, v9, v49
	v_add_f16_sdwa v50, v9, v50 dst_sel:DWORD dst_unused:UNUSED_PAD src0_sel:WORD_1 src1_sel:DWORD
	v_add_f16_e32 v44, v44, v57
	v_fma_f16 v57, v14, 0xbbc4, -v53
	v_add_f16_e32 v37, v17, v37
	v_fmamk_f16 v17, v27, 0xbbc4, v55
	v_add_f16_e32 v38, v9, v38
	v_add_f16_sdwa v39, v9, v39 dst_sel:DWORD dst_unused:UNUSED_PAD src0_sel:WORD_1 src1_sel:DWORD
	v_pk_add_f16 v18, v45, v18
	v_mov_b32_e32 v45, 0x394e
	v_add_f16_e32 v49, v57, v49
	v_fmac_f16_e32 v53, 0xbbc4, v14
	v_add_f16_e32 v50, v17, v50
	v_fma_f16 v17, v27, 0xbbc4, -v55
	v_mul_f16_e32 v57, 0x394e, v11
	v_add_f16_sdwa v52, v9, v52 dst_sel:DWORD dst_unused:UNUSED_PAD src0_sel:WORD_1 src1_sel:DWORD
	v_mul_f16_sdwa v45, v11, v45 dst_sel:DWORD dst_unused:UNUSED_PAD src0_sel:WORD_1 src1_sel:DWORD
	v_add_f16_e32 v38, v53, v38
	v_mov_b32_e32 v53, 0x3bf1
	v_add_f16_e32 v39, v17, v39
	v_fmamk_f16 v17, v27, 0xb9fd, v57
	v_add_f16_e32 v51, v9, v51
	v_fma_f16 v55, v14, 0xb9fd, -v45
	v_fmac_f16_e32 v45, 0xb9fd, v14
	v_mul_f16_sdwa v53, v11, v53 dst_sel:DWORD dst_unused:UNUSED_PAD src0_sel:WORD_1 src1_sel:DWORD
	v_add_f16_e32 v52, v17, v52
	v_pk_add_f16 v17, v28, v35 neg_lo:[0,1] neg_hi:[0,1]
	v_add_f16_e32 v51, v55, v51
	v_mul_f16_e32 v55, 0x3bf1, v11
	v_add_f16_e32 v26, v45, v26
	v_fma_f16 v45, v14, 0x2fb7, -v53
	v_pk_add_f16 v28, v35, v28
	v_mul_f16_sdwa v35, v17, v19 dst_sel:DWORD dst_unused:UNUSED_PAD src0_sel:WORD_1 src1_sel:DWORD
	v_fma_f16 v57, v27, 0xb9fd, -v57
	v_fmamk_f16 v59, v27, 0x2fb7, v55
	v_add_f16_e32 v41, v45, v41
	v_add_f16_sdwa v36, v9, v36 dst_sel:DWORD dst_unused:UNUSED_PAD src0_sel:WORD_1 src1_sel:DWORD
	v_fma_f16 v27, v27, 0x2fb7, -v55
	v_fma_f16 v45, v28, 0x2fb7, -v35
	v_pk_mul_f16 v55, 0x2fb7bbc4, v28
	v_add_f16_sdwa v54, v9, v54 dst_sel:DWORD dst_unused:UNUSED_PAD src0_sel:WORD_1 src1_sel:DWORD
	v_fmac_f16_e32 v42, 0xb9fd, v15
	v_add_f16_e32 v40, v57, v40
	v_add_f16_e32 v27, v27, v36
	;; [unrolled: 1-line block ×3, first 2 shown]
	v_pk_fma_f16 v43, 0xb3a8bbf1, v17, v55 op_sel:[0,0,1] op_sel_hi:[1,1,0] neg_lo:[0,1,0] neg_hi:[0,1,0]
	v_pk_fma_f16 v45, 0xb3a8bbf1, v17, v55 op_sel:[0,0,1] op_sel_hi:[1,1,0]
	v_lshrrev_b32_e32 v55, 16, v28
	v_mul_f16_e32 v57, 0xb3a8, v17
	v_add_f16_e32 v42, v9, v42
	v_fmac_f16_e32 v53, 0x2fb7, v14
	v_add_f16_e32 v54, v59, v54
	v_fmac_f16_e32 v35, 0x2fb7, v28
	v_bfi_b32 v59, 0xffff, v45, v43
	v_fmamk_f16 v61, v55, 0xbbc4, v57
	v_add_f16_e32 v42, v53, v42
	v_pk_add_f16 v53, v34, v29
	v_pk_add_f16 v29, v29, v34 neg_lo:[0,1] neg_hi:[0,1]
	v_pk_add_f16 v34, v33, v30
	v_pk_add_f16 v30, v30, v33 neg_lo:[0,1] neg_hi:[0,1]
	;; [unrolled: 2-line block ×3, first 2 shown]
	v_add_f16_e32 v32, v35, v44
	v_pk_add_f16 v35, v59, v46
	v_mul_f16_sdwa v44, v17, v60 dst_sel:DWORD dst_unused:UNUSED_PAD src0_sel:WORD_1 src1_sel:DWORD
	v_add_f16_e32 v46, v61, v48
	v_fma_f16 v48, v55, 0xbbc4, -v57
	v_mov_b32_e32 v57, 0x3770
	v_mul_f16_e32 v59, 0x3b7b, v17
	v_fma_f16 v60, v28, 0xb5ac, -v44
	v_pk_add_f16 v18, v45, v18
	v_add_f16_e32 v37, v48, v37
	v_mul_f16_sdwa v45, v17, v57 dst_sel:DWORD dst_unused:UNUSED_PAD src0_sel:WORD_1 src1_sel:DWORD
	v_fmamk_f16 v48, v55, 0xb5ac, v59
	v_add_f16_e32 v49, v60, v49
	v_fmac_f16_e32 v44, 0xb5ac, v28
	v_fma_f16 v59, v55, 0xb5ac, -v59
	v_fma_f16 v60, v28, 0x3b15, -v45
	v_add_f16_e32 v48, v48, v50
	v_mul_f16_e32 v50, 0x3770, v17
	v_add_f16_e32 v38, v44, v38
	v_add_f16_e32 v39, v59, v39
	;; [unrolled: 1-line block ×3, first 2 shown]
	v_mul_f16_sdwa v51, v17, v23 dst_sel:DWORD dst_unused:UNUSED_PAD src0_sel:WORD_1 src1_sel:DWORD
	v_fmamk_f16 v59, v55, 0x3b15, v50
	v_fmac_f16_e32 v45, 0x3b15, v28
	v_fma_f16 v50, v55, 0x3b15, -v50
	v_mul_f16_e32 v60, 0xba95, v17
	v_fma_f16 v61, v28, 0x388b, -v51
	v_add_f16_e32 v52, v59, v52
	v_add_f16_e32 v26, v45, v26
	v_add_f16_e32 v40, v50, v40
	v_fmamk_f16 v45, v55, 0x388b, v60
	v_fmac_f16_e32 v51, 0x388b, v28
	v_mul_f16_sdwa v50, v29, v12 dst_sel:DWORD dst_unused:UNUSED_PAD src0_sel:WORD_1 src1_sel:DWORD
	v_pk_mul_f16 v59, 0xb5acb9fd, v53
	v_add_f16_e32 v41, v61, v41
	v_add_f16_e32 v45, v45, v54
	v_fma_f16 v54, v55, 0x388b, -v60
	v_add_f16_e32 v42, v51, v42
	v_fma_f16 v51, v53, 0xb5ac, -v50
	v_pk_fma_f16 v55, 0x394ebb7b, v29, v59 op_sel:[0,0,1] op_sel_hi:[1,1,0] neg_lo:[0,1,0] neg_hi:[0,1,0]
	v_pk_fma_f16 v59, 0x394ebb7b, v29, v59 op_sel:[0,0,1] op_sel_hi:[1,1,0]
	v_fmac_f16_e32 v50, 0xb5ac, v53
	v_lshrrev_b32_e32 v60, 16, v53
	v_mul_f16_e32 v61, 0x394e, v29
	v_add_f16_e32 v27, v54, v27
	v_add_f16_e32 v36, v51, v36
	v_bfi_b32 v51, 0xffff, v59, v55
	v_add_f16_e32 v32, v50, v32
	v_fmamk_f16 v50, v60, 0xb9fd, v61
	v_mul_f16_sdwa v54, v29, v57 dst_sel:DWORD dst_unused:UNUSED_PAD src0_sel:WORD_1 src1_sel:DWORD
	v_mul_f16_e32 v62, 0x3770, v29
	v_pk_add_f16 v35, v51, v35
	v_fma_f16 v51, v60, 0xb9fd, -v61
	v_add_f16_e32 v46, v50, v46
	v_fma_f16 v50, v53, 0x3b15, -v54
	v_fmamk_f16 v61, v60, 0x3b15, v62
	v_mul_f16_sdwa v19, v29, v19 dst_sel:DWORD dst_unused:UNUSED_PAD src0_sel:WORD_1 src1_sel:DWORD
	v_pk_add_f16 v18, v59, v18
	v_add_f16_e32 v37, v51, v37
	v_add_f16_e32 v49, v50, v49
	;; [unrolled: 1-line block ×3, first 2 shown]
	v_fmac_f16_e32 v54, 0x3b15, v53
	v_fma_f16 v50, v60, 0x3b15, -v62
	v_fma_f16 v51, v53, 0x2fb7, -v19
	v_mov_b32_e32 v59, 0x33a8
	v_mul_f16_e32 v61, 0xbbf1, v29
	v_add_f16_e32 v38, v54, v38
	v_add_f16_e32 v39, v50, v39
	;; [unrolled: 1-line block ×3, first 2 shown]
	v_mul_f16_sdwa v50, v29, v59 dst_sel:DWORD dst_unused:UNUSED_PAD src0_sel:WORD_1 src1_sel:DWORD
	v_fmamk_f16 v51, v60, 0x2fb7, v61
	v_fmac_f16_e32 v19, 0x2fb7, v53
	v_fma_f16 v54, v60, 0x2fb7, -v61
	v_mul_f16_e32 v61, 0x33a8, v29
	v_fma_f16 v62, v53, 0xbbc4, -v50
	v_add_f16_e32 v51, v51, v52
	v_add_f16_e32 v19, v19, v26
	;; [unrolled: 1-line block ×3, first 2 shown]
	v_fmamk_f16 v40, v60, 0xbbc4, v61
	v_fmac_f16_e32 v50, 0xbbc4, v53
	v_mul_f16_sdwa v52, v30, v16 dst_sel:DWORD dst_unused:UNUSED_PAD src0_sel:WORD_1 src1_sel:DWORD
	v_pk_mul_f16 v54, 0xb9fd2fb7, v34
	v_add_f16_e32 v41, v62, v41
	v_add_f16_e32 v40, v40, v45
	v_fma_f16 v45, v60, 0xbbc4, -v61
	v_add_f16_e32 v42, v50, v42
	v_fma_f16 v50, v34, 0xb9fd, -v52
	v_pk_fma_f16 v60, 0x3bf1b94e, v30, v54 op_sel:[0,0,1] op_sel_hi:[1,1,0] neg_lo:[0,1,0] neg_hi:[0,1,0]
	v_pk_fma_f16 v54, 0x3bf1b94e, v30, v54 op_sel:[0,0,1] op_sel_hi:[1,1,0]
	v_lshrrev_b32_e32 v61, 16, v34
	v_mul_f16_e32 v62, 0x3bf1, v30
	v_fmac_f16_e32 v52, 0xb9fd, v34
	v_add_f16_e32 v27, v45, v27
	v_bfi_b32 v45, 0xffff, v54, v60
	v_add_f16_e32 v36, v50, v36
	v_fmamk_f16 v50, v61, 0x2fb7, v62
	v_add_f16_e32 v32, v52, v32
	v_fma_f16 v52, v61, 0x2fb7, -v62
	v_pk_add_f16 v35, v45, v35
	v_mul_f16_sdwa v23, v30, v23 dst_sel:DWORD dst_unused:UNUSED_PAD src0_sel:WORD_1 src1_sel:DWORD
	v_add_f16_e32 v45, v50, v46
	v_mul_f16_sdwa v50, v30, v59 dst_sel:DWORD dst_unused:UNUSED_PAD src0_sel:WORD_1 src1_sel:DWORD
	v_add_f16_e32 v37, v52, v37
	v_mul_f16_e32 v59, 0x33a8, v30
	v_fma_f16 v52, v34, 0x388b, -v23
	v_fmac_f16_e32 v23, 0x388b, v34
	v_fma_f16 v63, v34, 0xbbc4, -v50
	v_fmac_f16_e32 v50, 0xbbc4, v34
	v_add_f16_sdwa v47, v9, v47 dst_sel:DWORD dst_unused:UNUSED_PAD src0_sel:WORD_1 src1_sel:DWORD
	v_mul_f16_e32 v46, 0xba95, v30
	v_add_f16_e32 v23, v23, v38
	v_add_f16_e32 v38, v63, v44
	v_mul_f16_sdwa v44, v30, v57 dst_sel:DWORD dst_unused:UNUSED_PAD src0_sel:WORD_1 src1_sel:DWORD
	v_fma_f16 v57, v61, 0xbbc4, -v59
	v_add_f16_e32 v49, v52, v49
	v_fmamk_f16 v52, v61, 0xbbc4, v59
	v_add_f16_e32 v19, v50, v19
	v_fmamk_f16 v62, v61, 0x388b, v46
	v_add_f16_e32 v50, v57, v26
	v_add_f16_e32 v26, v56, v47
	v_add_f16_e32 v51, v52, v51
	v_mul_f16_e32 v52, 0x3770, v30
	v_fma_f16 v59, v34, 0x3b15, -v44
	v_fmac_f16_e32 v44, 0x3b15, v34
	v_mul_f16_sdwa v56, v31, v58 dst_sel:DWORD dst_unused:UNUSED_PAD src0_sel:WORD_1 src1_sel:DWORD
	v_add_f16_e32 v26, v43, v26
	v_pk_mul_f16 v43, 0xbbc43b15, v33
	v_add_f16_e32 v48, v62, v48
	v_fmamk_f16 v62, v61, 0x3b15, v52
	v_add_f16_e32 v42, v44, v42
	v_fma_f16 v44, v61, 0x3b15, -v52
	v_fma_f16 v52, v33, 0xbbc4, -v56
	v_pk_fma_f16 v57, 0x3770b3a8, v31, v43 op_sel:[0,0,1] op_sel_hi:[1,1,0] neg_lo:[0,1,0] neg_hi:[0,1,0]
	v_add_f16_e32 v26, v55, v26
	v_pk_fma_f16 v55, 0x3770b3a8, v31, v43 op_sel:[0,0,1] op_sel_hi:[1,1,0]
	v_fmac_f16_e32 v56, 0xbbc4, v33
	v_add_f16_e32 v36, v52, v36
	v_mul_f16_e32 v58, 0x3770, v31
	v_add_f16_e32 v44, v44, v27
	v_bfi_b32 v52, 0xffff, v55, v57
	v_lshrrev_b32_e32 v55, 16, v33
	v_add_f16_e32 v27, v60, v26
	v_add_f16_e32 v26, v56, v32
	v_mul_f16_sdwa v12, v31, v12 dst_sel:DWORD dst_unused:UNUSED_PAD src0_sel:WORD_1 src1_sel:DWORD
	v_pk_add_f16 v32, v52, v35
	v_fmamk_f16 v35, v55, 0x3b15, v58
	v_mov_b32_e32 v52, 0x3a95
	v_fma_f16 v56, v55, 0x3b15, -v58
	v_add_f16_e32 v41, v59, v41
	v_pk_mul_f16 v15, 0xbbc4, v15 op_sel_hi:[0,1]
	v_add_f16_e32 v35, v35, v45
	v_mul_f16_sdwa v45, v31, v52 dst_sel:DWORD dst_unused:UNUSED_PAD src0_sel:WORD_1 src1_sel:DWORD
	v_add_f16_e32 v37, v56, v37
	v_mul_f16_sdwa v16, v31, v16 dst_sel:DWORD dst_unused:UNUSED_PAD src0_sel:WORD_1 src1_sel:DWORD
	v_pk_mul_f16 v14, 0x3b15, v14 op_sel_hi:[0,1]
	v_add_f16_e32 v27, v57, v27
	v_fma_f16 v56, v33, 0x388b, -v45
	v_fmac_f16_e32 v45, 0x388b, v33
	v_fma_f16 v58, v33, 0xb9fd, -v16
	v_fmac_f16_e32 v16, 0xb9fd, v33
	v_mul_f16_e32 v57, 0xb9fd, v55
	v_fma_f16 v46, v61, 0x388b, -v46
	v_add_f16_e32 v19, v45, v19
	v_fma_f16 v45, v33, 0xb5ac, -v12
	v_fmac_f16_e32 v12, 0xb5ac, v33
	v_add_f16_e32 v49, v58, v49
	v_mul_f16_e32 v58, 0x3a95, v31
	v_add_f16_e32 v16, v16, v23
	v_add_f16_e32 v41, v45, v41
	v_pk_fma_f16 v45, 0xb3a8, v13, v15 op_sel:[0,0,1] op_sel_hi:[0,1,0] neg_lo:[0,1,0] neg_hi:[0,1,0]
	v_pk_fma_f16 v13, 0xb3a8, v13, v15 op_sel:[0,0,1] op_sel_hi:[0,1,0]
	v_add_f16_e32 v12, v12, v42
	v_add_f16_e32 v23, v56, v38
	v_fma_f16 v56, v55, 0x388b, -v58
	v_pk_add_f16 v42, v9, v45 op_sel:[1,0] op_sel_hi:[0,1]
	v_pk_add_f16 v9, v9, v13 op_sel:[1,0] op_sel_hi:[0,1]
	v_pk_fma_f16 v13, 0x3770, v11, v14 op_sel:[0,0,1] op_sel_hi:[0,1,0] neg_lo:[0,1,0] neg_hi:[0,1,0]
	v_pk_fma_f16 v11, 0x3770, v11, v14 op_sel:[0,0,1] op_sel_hi:[0,1,0]
	v_pk_mul_f16 v14, 0xb9fd, v28 op_sel_hi:[0,1]
	v_fmamk_f16 v52, v31, 0xb94e, v57
	v_add_f16_e32 v50, v56, v50
	v_pk_add_f16 v13, v13, v42
	v_pk_add_f16 v9, v11, v9
	v_pk_fma_f16 v11, 0xb94e, v17, v14 op_sel:[0,0,1] op_sel_hi:[0,1,0] neg_lo:[0,1,0] neg_hi:[0,1,0]
	v_pk_fma_f16 v14, 0xb94e, v17, v14 op_sel:[0,0,1] op_sel_hi:[0,1,0]
	v_pk_mul_f16 v17, 0x388b, v53 op_sel_hi:[0,1]
	v_mul_f16_e32 v56, 0xb94e, v31
	v_add_f16_e32 v48, v52, v48
	v_pk_add_f16 v11, v11, v13
	v_pk_add_f16 v9, v14, v9
	v_pk_fma_f16 v13, 0x3a95, v29, v17 op_sel:[0,0,1] op_sel_hi:[0,1,0] neg_lo:[0,1,0] neg_hi:[0,1,0]
	v_pk_mul_f16 v14, 0xb5ac, v34 op_sel_hi:[0,1]
	v_pk_fma_f16 v17, 0x3a95, v29, v17 op_sel:[0,0,1] op_sel_hi:[0,1,0]
	v_pk_mul_f16 v52, 0x3770b3a8, v31
	v_fmamk_f16 v38, v55, 0x388b, v58
	v_pk_add_f16 v11, v13, v11
	v_pk_fma_f16 v13, 0xbb7b, v30, v14 op_sel:[0,0,1] op_sel_hi:[0,1,0] neg_lo:[0,1,0] neg_hi:[0,1,0]
	v_pk_add_f16 v9, v17, v9
	v_pk_fma_f16 v14, 0xbb7b, v30, v14 op_sel:[0,0,1] op_sel_hi:[0,1,0]
	v_pk_mul_f16 v17, 0x2fb7, v33 op_sel_hi:[0,1]
	v_mul_f16_e32 v58, 0xbb7b, v31
	v_pk_add_f16 v11, v13, v11
	v_bfi_b32 v13, 0xffff, v56, v18
	v_alignbit_b32 v28, v35, v32, 16
	v_pack_b32_f16 v29, v36, v32
	v_pk_add_f16 v9, v14, v9
	v_pk_fma_f16 v14, 0x3bf1, v31, v17 op_sel:[0,0,1] op_sel_hi:[0,1,0] neg_lo:[0,1,0] neg_hi:[0,1,0]
	v_pack_b32_f16 v30, v46, v43
	v_bfi_b32 v32, 0xffff, v39, v52
	v_pk_add_f16 v13, v57, v13 neg_lo:[0,1] neg_hi:[0,1]
	v_pk_add_f16 v18, v54, v18
	v_add_f16_e32 v40, v62, v40
	v_add_f16_e32 v38, v38, v51
	v_fmamk_f16 v51, v55, 0xb5ac, v58
	v_pk_fma_f16 v17, 0x3bf1, v31, v17 op_sel:[0,0,1] op_sel_hi:[0,1,0]
	v_fma_f16 v15, v55, 0xb5ac, -v58
	v_pk_add_f16 v11, v14, v11
	v_pk_add_f16 v14, v30, v32
	v_bfi_b32 v13, 0xffff, v13, v18
	v_add_f16_e32 v40, v51, v40
	v_pk_add_f16 v9, v17, v9
	v_add_f16_e32 v15, v15, v44
	v_mad_u32_u24 v47, v0, 48, v1
	v_pk_add_f16 v13, v13, v14
	v_pack_b32_f16 v17, v41, v40
	v_pack_b32_f16 v23, v23, v38
	;; [unrolled: 1-line block ×3, first 2 shown]
	v_alignbit_b32 v14, v11, v9, 16
	v_alignbit_b32 v9, v9, v11, 16
	v_pack_b32_f16 v11, v19, v50
	v_pack_b32_f16 v12, v12, v15
	v_alignbit_b32 v15, v37, v13, 16
	v_pack_b32_f16 v13, v16, v13
	v_pack_b32_f16 v16, v26, v27
	ds_write2_b32 v47, v29, v28 offset0:1 offset1:2
	ds_write2_b32 v47, v31, v23 offset0:3 offset1:4
	ds_write2_b32 v47, v10, v17 offset1:5
	ds_write2_b32 v47, v9, v14 offset0:6 offset1:7
	ds_write2_b32 v47, v12, v11 offset0:8 offset1:9
	ds_write2_b32 v47, v13, v15 offset0:10 offset1:11
	ds_write_b32 v47, v16 offset:48
	v_add_nc_u32_e32 v9, 0x600, v1
	v_lshl_add_u32 v23, v5, 2, v21
	s_waitcnt lgkmcnt(0)
	s_barrier
	buffer_gl0_inv
	ds_read2_b32 v[12:13], v1 offset0:169 offset1:247
	ds_read2_b32 v[10:11], v25 offset0:82 offset1:160
	;; [unrolled: 1-line block ×5, first 2 shown]
	ds_read_b32 v36, v20
	ds_read_b32 v35, v23
	v_lshlrev_b32_e32 v28, 2, v4
                                        ; implicit-def: $vgpr30
                                        ; implicit-def: $vgpr29
                                        ; implicit-def: $vgpr33
                                        ; implicit-def: $vgpr9
                                        ; implicit-def: $vgpr31
                                        ; implicit-def: $vgpr34
                                        ; implicit-def: $vgpr7
                                        ; implicit-def: $vgpr32
	s_and_saveexec_b32 s1, s0
	s_cbranch_execz .LBB0_15
; %bb.14:
	v_add3_u32 v26, 0, v28, v24
	ds_read2_b32 v[6:7], v25 offset0:69 offset1:238
	ds_read2_b32 v[8:9], v8 offset0:23 offset1:192
	ds_read_b32 v26, v26
	ds_read_b32 v29, v1 offset:4004
	s_waitcnt lgkmcnt(3)
	v_lshrrev_b32_e32 v32, 16, v6
	v_lshrrev_b32_e32 v34, 16, v7
	s_waitcnt lgkmcnt(2)
	v_lshrrev_b32_e32 v31, 16, v8
	v_lshrrev_b32_e32 v33, 16, v9
	s_waitcnt lgkmcnt(1)
	v_lshrrev_b32_e32 v27, 16, v26
	s_waitcnt lgkmcnt(0)
	v_lshrrev_b32_e32 v30, 16, v29
.LBB0_15:
	s_or_b32 exec_lo, exec_lo, s1
	v_and_b32_e32 v25, 0xff, v0
	v_and_b32_e32 v37, 0xff, v5
	s_waitcnt lgkmcnt(5)
	v_lshrrev_b32_e32 v56, 16, v10
	s_waitcnt lgkmcnt(4)
	v_lshrrev_b32_e32 v57, 16, v18
	;; [unrolled: 2-line block ×3, first 2 shown]
	v_mul_lo_u16 v25, 0x4f, v25
	v_mul_lo_u16 v37, 0x4f, v37
	s_waitcnt lgkmcnt(2)
	v_lshrrev_b32_e32 v60, 16, v14
	v_lshrrev_b32_e32 v54, 16, v15
	v_lshrrev_b32_e32 v55, 16, v12
	v_lshrrev_b16 v46, 10, v25
	v_lshrrev_b16 v37, 10, v37
	v_mov_b32_e32 v25, 5
	v_lshrrev_b32_e32 v63, 16, v19
	v_lshrrev_b32_e32 v61, 16, v13
	v_mul_lo_u16 v38, v46, 13
	v_and_b32_e32 v46, 0xffff, v46
	v_and_b32_e32 v58, 0xffff, v37
	v_lshrrev_b32_e32 v62, 16, v11
	v_lshrrev_b32_e32 v53, 16, v17
	v_sub_nc_u16 v47, v0, v38
	v_mul_lo_u16 v38, v37, 13
	v_mov_b32_e32 v37, 2
	v_mad_u32_u24 v46, 0x138, v46, 0
	v_mad_u32_u24 v58, 0x138, v58, 0
	v_mul_u32_u24_sdwa v39, v47, v25 dst_sel:DWORD dst_unused:UNUSED_PAD src0_sel:BYTE_0 src1_sel:DWORD
	v_sub_nc_u16 v48, v5, v38
	v_lshlrev_b32_sdwa v47, v37, v47 dst_sel:DWORD dst_unused:UNUSED_PAD src0_sel:DWORD src1_sel:BYTE_0
	s_waitcnt lgkmcnt(1)
	v_lshrrev_b32_e32 v51, 16, v36
	s_waitcnt lgkmcnt(0)
	v_lshrrev_b32_e32 v52, 16, v35
	v_lshlrev_b32_e32 v42, 2, v39
	v_mul_u32_u24_sdwa v43, v48, v25 dst_sel:DWORD dst_unused:UNUSED_PAD src0_sel:BYTE_0 src1_sel:DWORD
	v_lshlrev_b32_sdwa v48, v37, v48 dst_sel:DWORD dst_unused:UNUSED_PAD src0_sel:DWORD src1_sel:BYTE_0
	v_add3_u32 v46, v46, v47, v24
	global_load_dwordx4 v[38:41], v42, s[8:9]
	v_lshlrev_b32_e32 v49, 2, v43
	v_add3_u32 v47, v58, v48, v24
	s_clause 0x2
	global_load_dword v50, v42, s[8:9] offset:16
	global_load_dwordx4 v[42:45], v49, s[8:9]
	global_load_dword v49, v49, s[8:9] offset:16
	s_waitcnt vmcnt(0)
	s_barrier
	buffer_gl0_inv
	v_mul_f16_sdwa v64, v39, v56 dst_sel:DWORD dst_unused:UNUSED_PAD src0_sel:WORD_1 src1_sel:DWORD
	v_mul_f16_sdwa v65, v39, v10 dst_sel:DWORD dst_unused:UNUSED_PAD src0_sel:WORD_1 src1_sel:DWORD
	;; [unrolled: 1-line block ×13, first 2 shown]
	v_mul_f16_sdwa v79, v17, v45 dst_sel:DWORD dst_unused:UNUSED_PAD src0_sel:DWORD src1_sel:WORD_1
	v_mul_f16_sdwa v80, v54, v49 dst_sel:DWORD dst_unused:UNUSED_PAD src0_sel:DWORD src1_sel:WORD_1
	;; [unrolled: 1-line block ×3, first 2 shown]
	v_mul_f16_sdwa v72, v42, v61 dst_sel:DWORD dst_unused:UNUSED_PAD src0_sel:WORD_1 src1_sel:DWORD
	v_mul_f16_sdwa v73, v42, v13 dst_sel:DWORD dst_unused:UNUSED_PAD src0_sel:WORD_1 src1_sel:DWORD
	;; [unrolled: 1-line block ×3, first 2 shown]
	v_fmac_f16_e32 v65, v39, v56
	v_fmac_f16_e32 v67, v40, v57
	v_fma_f16 v10, v39, v10, -v64
	v_fma_f16 v18, v40, v18, -v66
	;; [unrolled: 1-line block ×3, first 2 shown]
	v_fmac_f16_e32 v69, v41, v59
	v_fma_f16 v14, v50, v14, -v70
	v_fmac_f16_e32 v71, v50, v60
	v_mul_f16_sdwa v78, v53, v45 dst_sel:DWORD dst_unused:UNUSED_PAD src0_sel:DWORD src1_sel:WORD_1
	v_fmac_f16_e32 v58, v38, v55
	v_fma_f16 v12, v38, v12, -v48
	v_fmac_f16_e32 v75, v43, v62
	v_fma_f16 v19, v44, v19, -v76
	v_fmac_f16_e32 v77, v44, v63
	v_fmac_f16_e32 v79, v53, v45
	v_fma_f16 v15, v15, v49, -v80
	v_fmac_f16_e32 v81, v54, v49
	v_fma_f16 v13, v42, v13, -v72
	;; [unrolled: 2-line block ×3, first 2 shown]
	v_add_f16_e32 v39, v10, v16
	v_add_f16_e32 v42, v65, v69
	;; [unrolled: 1-line block ×4, first 2 shown]
	v_fma_f16 v17, v17, v45, -v78
	v_add_f16_e32 v38, v36, v10
	v_add_f16_e32 v41, v51, v65
	;; [unrolled: 1-line block ×7, first 2 shown]
	v_sub_f16_e32 v40, v65, v69
	v_sub_f16_e32 v10, v10, v16
	;; [unrolled: 1-line block ×4, first 2 shown]
	v_add_f16_e32 v50, v35, v11
	v_add_f16_e32 v55, v52, v75
	;; [unrolled: 1-line block ×4, first 2 shown]
	v_fmac_f16_e32 v36, -0.5, v39
	v_fmac_f16_e32 v51, -0.5, v42
	;; [unrolled: 1-line block ×4, first 2 shown]
	v_add_f16_e32 v53, v11, v17
	v_sub_f16_e32 v11, v11, v17
	v_sub_f16_e32 v60, v77, v81
	;; [unrolled: 1-line block ×3, first 2 shown]
	v_add_f16_e32 v16, v38, v16
	v_add_f16_e32 v38, v41, v69
	;; [unrolled: 1-line block ×4, first 2 shown]
	v_fmac_f16_e32 v52, -0.5, v56
	v_fmac_f16_e32 v13, -0.5, v59
	;; [unrolled: 1-line block ×3, first 2 shown]
	v_add_f16_e32 v17, v50, v17
	v_add_f16_e32 v41, v55, v79
	;; [unrolled: 1-line block ×4, first 2 shown]
	v_fmamk_f16 v43, v40, 0x3aee, v36
	v_fmac_f16_e32 v36, 0xbaee, v40
	v_fmamk_f16 v40, v10, 0xbaee, v51
	v_fmac_f16_e32 v51, 0x3aee, v10
	v_fmamk_f16 v10, v45, 0x3aee, v12
	v_fmamk_f16 v44, v18, 0xbaee, v58
	v_fmac_f16_e32 v12, 0xbaee, v45
	v_fmac_f16_e32 v58, 0x3aee, v18
	v_sub_f16_e32 v54, v75, v79
	v_fmac_f16_e32 v35, -0.5, v53
	v_add_f16_e32 v18, v16, v14
	v_add_f16_e32 v45, v38, v39
	v_sub_f16_e32 v14, v16, v14
	v_sub_f16_e32 v16, v38, v39
	v_fmamk_f16 v39, v11, 0xbaee, v52
	v_fmac_f16_e32 v52, 0x3aee, v11
	v_fmamk_f16 v11, v60, 0x3aee, v13
	v_fmamk_f16 v48, v19, 0xbaee, v73
	v_fmac_f16_e32 v13, 0xbaee, v60
	v_fmac_f16_e32 v73, 0x3aee, v19
	v_add_f16_e32 v19, v17, v15
	v_add_f16_e32 v49, v41, v42
	v_sub_f16_e32 v15, v17, v15
	v_sub_f16_e32 v17, v41, v42
	v_mul_f16_e32 v41, 0x3aee, v44
	v_mul_f16_e32 v50, 0xbaee, v10
	v_mul_f16_e32 v42, -0.5, v12
	v_mul_f16_e32 v53, -0.5, v58
	v_fmamk_f16 v38, v54, 0x3aee, v35
	v_fmac_f16_e32 v35, 0xbaee, v54
	v_mul_f16_e32 v54, 0x3aee, v48
	v_mul_f16_e32 v56, 0xbaee, v11
	v_mul_f16_e32 v55, -0.5, v13
	v_mul_f16_e32 v57, -0.5, v73
	v_fmac_f16_e32 v41, 0.5, v10
	v_fmac_f16_e32 v50, 0.5, v44
	v_fmac_f16_e32 v42, 0x3aee, v58
	v_fmac_f16_e32 v53, 0xbaee, v12
	v_fmac_f16_e32 v54, 0.5, v11
	v_fmac_f16_e32 v56, 0.5, v48
	v_fmac_f16_e32 v55, 0x3aee, v73
	v_fmac_f16_e32 v57, 0xbaee, v13
	v_add_f16_e32 v10, v43, v41
	v_add_f16_e32 v12, v40, v50
	;; [unrolled: 1-line block ×4, first 2 shown]
	v_pack_b32_f16 v14, v14, v16
	v_pack_b32_f16 v16, v19, v49
	;; [unrolled: 1-line block ×3, first 2 shown]
	v_sub_f16_e32 v17, v43, v41
	v_sub_f16_e32 v19, v36, v42
	;; [unrolled: 1-line block ×4, first 2 shown]
	v_add_f16_e32 v41, v38, v54
	v_add_f16_e32 v43, v39, v56
	;; [unrolled: 1-line block ×4, first 2 shown]
	v_pack_b32_f16 v18, v18, v45
	v_sub_f16_e32 v38, v38, v54
	v_sub_f16_e32 v35, v35, v55
	;; [unrolled: 1-line block ×4, first 2 shown]
	v_pack_b32_f16 v10, v10, v12
	v_pack_b32_f16 v11, v11, v13
	v_pack_b32_f16 v12, v17, v36
	v_pack_b32_f16 v13, v19, v40
	v_pack_b32_f16 v17, v41, v43
	v_pack_b32_f16 v19, v42, v44
	v_pack_b32_f16 v36, v38, v39
	v_pack_b32_f16 v35, v35, v45
	ds_write2_b32 v46, v18, v10 offset1:13
	ds_write2_b32 v46, v11, v14 offset0:26 offset1:39
	ds_write2_b32 v46, v12, v13 offset0:52 offset1:65
	ds_write2_b32 v47, v16, v17 offset1:13
	ds_write2_b32 v47, v19, v15 offset0:26 offset1:39
	ds_write2_b32 v47, v36, v35 offset0:52 offset1:65
	s_and_saveexec_b32 s1, s0
	s_cbranch_execz .LBB0_17
; %bb.16:
	v_and_b32_e32 v10, 0xff, v4
	v_mul_lo_u16 v10, 0x4f, v10
	v_lshrrev_b16 v10, 10, v10
	v_mul_lo_u16 v10, v10, 13
	v_sub_nc_u16 v14, v4, v10
	v_mul_u32_u24_sdwa v10, v14, v25 dst_sel:DWORD dst_unused:UNUSED_PAD src0_sel:BYTE_0 src1_sel:DWORD
	v_lshlrev_b32_sdwa v14, v37, v14 dst_sel:DWORD dst_unused:UNUSED_PAD src0_sel:DWORD src1_sel:BYTE_0
	v_lshlrev_b32_e32 v15, 2, v10
	v_add3_u32 v14, 0, v14, v24
	s_clause 0x1
	global_load_dwordx4 v[10:13], v15, s[8:9]
	global_load_dword v15, v15, s[8:9] offset:16
	v_add_nc_u32_e32 v14, 0xc00, v14
	s_waitcnt vmcnt(1)
	v_mul_f16_sdwa v16, v34, v11 dst_sel:DWORD dst_unused:UNUSED_PAD src0_sel:DWORD src1_sel:WORD_1
	v_mul_f16_sdwa v18, v7, v11 dst_sel:DWORD dst_unused:UNUSED_PAD src0_sel:DWORD src1_sel:WORD_1
	;; [unrolled: 1-line block ×3, first 2 shown]
	s_waitcnt vmcnt(0)
	v_mul_f16_sdwa v36, v30, v15 dst_sel:DWORD dst_unused:UNUSED_PAD src0_sel:DWORD src1_sel:WORD_1
	v_mul_f16_sdwa v37, v8, v12 dst_sel:DWORD dst_unused:UNUSED_PAD src0_sel:DWORD src1_sel:WORD_1
	;; [unrolled: 1-line block ×7, first 2 shown]
	v_fma_f16 v7, v7, v11, -v16
	v_fmac_f16_e32 v18, v34, v11
	v_fma_f16 v8, v8, v12, -v35
	v_fma_f16 v11, v29, v15, -v36
	v_fmac_f16_e32 v37, v31, v12
	v_fmac_f16_e32 v38, v30, v15
	v_fma_f16 v9, v9, v13, -v17
	v_fmac_f16_e32 v19, v33, v13
	v_fma_f16 v6, v6, v10, -v25
	v_fmac_f16_e32 v39, v32, v10
	v_add_f16_e32 v13, v8, v11
	v_add_f16_e32 v17, v37, v38
	;; [unrolled: 1-line block ×3, first 2 shown]
	v_sub_f16_e32 v15, v37, v38
	v_sub_f16_e32 v16, v8, v11
	v_add_f16_e32 v25, v27, v18
	v_add_f16_e32 v29, v39, v37
	;; [unrolled: 1-line block ×4, first 2 shown]
	v_fma_f16 v6, -0.5, v13, v6
	v_fma_f16 v13, -0.5, v17, v39
	v_sub_f16_e32 v10, v7, v9
	v_add_f16_e32 v7, v26, v7
	v_sub_f16_e32 v18, v18, v19
	v_fma_f16 v12, -0.5, v12, v27
	v_add_f16_e32 v17, v25, v19
	v_add_f16_e32 v19, v29, v38
	v_fma_f16 v25, -0.5, v30, v26
	v_add_f16_e32 v8, v8, v11
	v_fmamk_f16 v11, v15, 0xbaee, v6
	v_fmamk_f16 v26, v16, 0x3aee, v13
	v_fmac_f16_e32 v13, 0xbaee, v16
	v_fmac_f16_e32 v6, 0x3aee, v15
	v_add_f16_e32 v7, v7, v9
	v_fmamk_f16 v9, v10, 0x3aee, v12
	v_fmac_f16_e32 v12, 0xbaee, v10
	v_sub_f16_e32 v10, v17, v19
	v_add_f16_e32 v17, v17, v19
	v_mul_f16_e32 v19, 0xbaee, v6
	v_mul_f16_e32 v27, 0x3aee, v13
	v_fmamk_f16 v15, v18, 0xbaee, v25
	v_fmac_f16_e32 v25, 0x3aee, v18
	v_sub_f16_e32 v16, v7, v8
	v_mul_f16_e32 v18, -0.5, v26
	v_add_f16_e32 v7, v7, v8
	v_mul_f16_e32 v8, -0.5, v11
	v_fmac_f16_e32 v19, 0.5, v13
	v_fmac_f16_e32 v27, 0.5, v6
	v_fmac_f16_e32 v18, 0xbaee, v11
	v_pack_b32_f16 v7, v7, v17
	v_fmac_f16_e32 v8, 0x3aee, v26
	v_sub_f16_e32 v11, v12, v19
	v_add_f16_e32 v12, v12, v19
	v_add_f16_e32 v13, v25, v27
	v_sub_f16_e32 v6, v9, v18
	v_add_f16_e32 v9, v9, v18
	v_add_f16_e32 v17, v15, v8
	v_sub_f16_e32 v18, v25, v27
	v_sub_f16_e32 v8, v15, v8
	v_pack_b32_f16 v12, v13, v12
	v_pack_b32_f16 v10, v16, v10
	;; [unrolled: 1-line block ×5, first 2 shown]
	ds_write2_b32 v14, v7, v12 offset0:168 offset1:181
	ds_write2_b32 v14, v9, v10 offset0:194 offset1:207
	;; [unrolled: 1-line block ×3, first 2 shown]
.LBB0_17:
	s_or_b32 exec_lo, exec_lo, s1
	v_mul_u32_u24_e32 v6, 12, v0
	s_waitcnt lgkmcnt(0)
	s_barrier
	buffer_gl0_inv
	v_add_nc_u32_e32 v7, 0x800, v1
	v_lshlrev_b32_e32 v6, 2, v6
	v_add_nc_u32_e32 v10, 0xa00, v1
	v_add_nc_u32_e32 v8, 0xc00, v1
	v_add3_u32 v9, 0, v28, v24
	v_add_nc_u32_e32 v13, 0x200, v1
	s_clause 0x2
	global_load_dwordx4 v[39:42], v6, s[8:9] offset:260
	global_load_dwordx4 v[43:46], v6, s[8:9] offset:276
	;; [unrolled: 1-line block ×3, first 2 shown]
	v_add_nc_u32_e32 v6, 0x400, v1
	s_add_u32 s1, s8, 0xfa4
	s_addc_u32 s4, s9, 0
	ds_read_b32 v26, v23
	ds_read2_b32 v[11:12], v6 offset0:134 offset1:212
	ds_read2_b32 v[18:19], v7 offset0:34 offset1:112
	;; [unrolled: 1-line block ×4, first 2 shown]
	ds_read_b32 v29, v9
	ds_read2_b32 v[24:25], v13 offset0:106 offset1:184
	ds_read_b32 v28, v20
	s_waitcnt vmcnt(0) lgkmcnt(0)
	s_barrier
	buffer_gl0_inv
	s_mov_b32 s5, exec_lo
	v_lshrrev_b32_e32 v56, 16, v35
	v_lshrrev_b32_e32 v31, 16, v26
	;; [unrolled: 1-line block ×12, first 2 shown]
	v_mul_f16_sdwa v61, v39, v31 dst_sel:DWORD dst_unused:UNUSED_PAD src0_sel:WORD_1 src1_sel:DWORD
	v_mul_f16_sdwa v62, v39, v26 dst_sel:DWORD dst_unused:UNUSED_PAD src0_sel:WORD_1 src1_sel:DWORD
	v_mul_f16_sdwa v63, v40, v33 dst_sel:DWORD dst_unused:UNUSED_PAD src0_sel:WORD_1 src1_sel:DWORD
	v_mul_f16_sdwa v36, v40, v29 dst_sel:DWORD dst_unused:UNUSED_PAD src0_sel:WORD_1 src1_sel:DWORD
	v_mul_f16_sdwa v69, v54, v46 dst_sel:DWORD dst_unused:UNUSED_PAD src0_sel:DWORD src1_sel:WORD_1
	v_mul_f16_sdwa v72, v57, v49 dst_sel:DWORD dst_unused:UNUSED_PAD src0_sel:DWORD src1_sel:WORD_1
	v_fma_f16 v61, v39, v26, -v61
	v_mul_f16_sdwa v64, v41, v59 dst_sel:DWORD dst_unused:UNUSED_PAD src0_sel:WORD_1 src1_sel:DWORD
	v_mul_f16_sdwa v32, v41, v24 dst_sel:DWORD dst_unused:UNUSED_PAD src0_sel:WORD_1 src1_sel:DWORD
	v_mul_f16_sdwa v66, v51, v43 dst_sel:DWORD dst_unused:UNUSED_PAD src0_sel:DWORD src1_sel:WORD_1
	v_mul_f16_sdwa v67, v52, v44 dst_sel:DWORD dst_unused:UNUSED_PAD src0_sel:DWORD src1_sel:WORD_1
	;; [unrolled: 1-line block ×8, first 2 shown]
	v_fmac_f16_e32 v62, v39, v31
	v_fma_f16 v39, v40, v29, -v63
	v_fmac_f16_e32 v36, v40, v33
	v_fma_f16 v26, v19, v46, -v69
	v_fma_f16 v19, v37, v49, -v72
	v_add_f16_e32 v40, v61, v28
	v_mul_f16_sdwa v65, v42, v60 dst_sel:DWORD dst_unused:UNUSED_PAD src0_sel:WORD_1 src1_sel:DWORD
	v_mul_f16_sdwa v27, v11, v43 dst_sel:DWORD dst_unused:UNUSED_PAD src0_sel:DWORD src1_sel:WORD_1
	v_mul_f16_sdwa v10, v18, v45 dst_sel:DWORD dst_unused:UNUSED_PAD src0_sel:DWORD src1_sel:WORD_1
	;; [unrolled: 1-line block ×5, first 2 shown]
	v_fma_f16 v33, v41, v24, -v64
	v_fmac_f16_e32 v32, v41, v59
	v_fma_f16 v29, v11, v43, -v66
	v_fma_f16 v11, v12, v44, -v67
	v_fmac_f16_e32 v9, v52, v44
	v_fma_f16 v12, v18, v45, -v68
	v_fma_f16 v24, v35, v48, -v71
	;; [unrolled: 1-line block ×3, first 2 shown]
	v_fmac_f16_e32 v15, v57, v49
	v_add_f16_sdwa v41, v62, v28 dst_sel:DWORD dst_unused:UNUSED_PAD src0_sel:DWORD src1_sel:WORD_1
	v_add_f16_e32 v38, v39, v19
	v_sub_f16_e32 v44, v39, v19
	v_add_f16_e32 v39, v40, v39
	v_mul_f16_sdwa v30, v42, v25 dst_sel:DWORD dst_unused:UNUSED_PAD src0_sel:WORD_1 src1_sel:DWORD
	v_mul_f16_sdwa v13, v34, v47 dst_sel:DWORD dst_unused:UNUSED_PAD src0_sel:DWORD src1_sel:WORD_1
	v_fma_f16 v31, v42, v25, -v65
	v_fmac_f16_e32 v10, v53, v45
	v_fmac_f16_e32 v17, v54, v46
	v_fma_f16 v25, v34, v47, -v70
	v_fmac_f16_e32 v14, v56, v48
	v_fmac_f16_e32 v16, v58, v50
	v_add_f16_e32 v37, v36, v15
	v_sub_f16_e32 v45, v36, v15
	v_add_f16_e32 v46, v33, v24
	v_sub_f16_e32 v49, v33, v24
	v_add_f16_e32 v36, v41, v36
	v_add_f16_e32 v33, v39, v33
	v_fmac_f16_e32 v30, v42, v60
	v_fmac_f16_e32 v27, v51, v43
	;; [unrolled: 1-line block ×3, first 2 shown]
	v_sub_f16_e32 v42, v61, v18
	v_sub_f16_e32 v43, v62, v16
	;; [unrolled: 1-line block ×3, first 2 shown]
	v_add_f16_e32 v47, v32, v14
	v_add_f16_e32 v51, v31, v25
	v_sub_f16_e32 v52, v31, v25
	v_add_f16_e32 v32, v36, v32
	v_add_f16_e32 v31, v33, v31
	;; [unrolled: 1-line block ×4, first 2 shown]
	v_sub_f16_e32 v50, v30, v13
	v_add_f16_e32 v53, v30, v13
	v_add_f16_e32 v54, v29, v26
	v_sub_f16_e32 v56, v29, v26
	v_mul_f16_e32 v40, 0xb770, v43
	v_mul_f16_e32 v41, 0xb770, v42
	;; [unrolled: 1-line block ×3, first 2 shown]
	v_add_f16_e32 v30, v32, v30
	v_add_f16_e32 v29, v31, v29
	v_sub_f16_e32 v55, v27, v17
	v_add_f16_e32 v57, v27, v17
	v_mul_f16_e32 v58, 0xba95, v43
	v_mul_f16_e32 v59, 0xba95, v42
	;; [unrolled: 1-line block ×17, first 2 shown]
	v_fma_f16 v104, v34, 0x3b15, -v40
	v_fmamk_f16 v105, v35, 0x3b15, v41
	v_fmac_f16_e32 v40, 0x3b15, v34
	v_fmamk_f16 v109, v35, 0x2fb7, v61
	v_fma_f16 v61, v35, 0x2fb7, -v61
	v_add_f16_e32 v27, v30, v27
	v_add_f16_e32 v29, v29, v11
	v_mul_f16_e32 v69, 0xbb7b, v44
	v_mul_f16_e32 v73, 0x394e, v44
	;; [unrolled: 1-line block ×13, first 2 shown]
	v_fma_f16 v41, v35, 0x3b15, -v41
	v_fma_f16 v106, v34, 0x388b, -v58
	v_fmamk_f16 v107, v35, 0x388b, v59
	v_fmac_f16_e32 v58, 0x388b, v34
	v_fma_f16 v59, v35, 0x388b, -v59
	v_fma_f16 v108, v34, 0x2fb7, -v60
	v_fmac_f16_e32 v60, 0x2fb7, v34
	v_fma_f16 v110, v34, 0xb5ac, -v62
	v_fmamk_f16 v111, v35, 0xb5ac, v63
	v_fmac_f16_e32 v62, 0xb5ac, v34
	v_fma_f16 v63, v35, 0xb5ac, -v63
	v_fma_f16 v112, v34, 0xb9fd, -v64
	v_fmamk_f16 v113, v35, 0xb9fd, v65
	v_fmac_f16_e32 v64, 0xb9fd, v34
	v_fma_f16 v65, v35, 0xb9fd, -v65
	;; [unrolled: 4-line block ×3, first 2 shown]
	v_fma_f16 v35, v38, 0x388b, -v66
	v_fmac_f16_e32 v66, 0x388b, v38
	v_fma_f16 v42, v38, 0xb5ac, -v68
	v_fmac_f16_e32 v68, 0xb5ac, v38
	;; [unrolled: 2-line block ×6, first 2 shown]
	v_fmamk_f16 v38, v37, 0x388b, v67
	v_fmamk_f16 v121, v37, 0xbbc4, v71
	v_fma_f16 v71, v37, 0xbbc4, -v71
	v_add_f16_e32 v104, v104, v28
	v_add_f16_sdwa v105, v105, v28 dst_sel:DWORD dst_unused:UNUSED_PAD src0_sel:DWORD src1_sel:WORD_1
	v_add_f16_e32 v40, v40, v28
	v_add_f16_sdwa v61, v61, v28 dst_sel:DWORD dst_unused:UNUSED_PAD src0_sel:DWORD src1_sel:WORD_1
	v_add_f16_e32 v27, v27, v9
	v_add_f16_e32 v29, v29, v12
	v_mul_f16_e32 v84, 0x3770, v49
	v_mul_f16_e32 v85, 0xba95, v49
	;; [unrolled: 1-line block ×11, first 2 shown]
	v_fma_f16 v67, v37, 0x388b, -v67
	v_fmamk_f16 v120, v37, 0xb5ac, v69
	v_fma_f16 v69, v37, 0xb5ac, -v69
	v_fmamk_f16 v122, v37, 0xb9fd, v73
	;; [unrolled: 2-line block ×4, first 2 shown]
	v_fma_f16 v37, v37, 0x3b15, -v44
	v_fma_f16 v44, v46, 0x2fb7, -v76
	v_fmac_f16_e32 v76, 0x2fb7, v46
	v_fma_f16 v125, v46, 0xbbc4, -v77
	v_fmac_f16_e32 v77, 0xbbc4, v46
	;; [unrolled: 2-line block ×6, first 2 shown]
	v_fmamk_f16 v36, v47, 0x2fb7, v81
	v_fma_f16 v39, v47, 0x2fb7, -v81
	v_fmamk_f16 v46, v47, 0xbbc4, v82
	v_fma_f16 v81, v47, 0xbbc4, -v82
	;; [unrolled: 2-line block ×3, first 2 shown]
	v_add_f16_sdwa v41, v41, v28 dst_sel:DWORD dst_unused:UNUSED_PAD src0_sel:DWORD src1_sel:WORD_1
	v_add_f16_e32 v58, v58, v28
	v_add_f16_sdwa v59, v59, v28 dst_sel:DWORD dst_unused:UNUSED_PAD src0_sel:DWORD src1_sel:WORD_1
	v_add_f16_e32 v60, v60, v28
	;; [unrolled: 2-line block ×3, first 2 shown]
	v_add_f16_e32 v43, v43, v28
	v_add_f16_e32 v35, v35, v104
	;; [unrolled: 1-line block ×7, first 2 shown]
	v_mul_f16_e32 v92, 0x394e, v52
	v_mul_f16_e32 v94, 0xbbf1, v52
	v_mul_f16_e32 v95, 0x33a8, v52
	v_mul_f16_e32 v52, 0x3a95, v52
	v_mul_f16_e32 v96, 0xb94e, v55
	v_mul_f16_e32 v97, 0xb94e, v56
	v_mul_f16_e32 v101, 0xba95, v56
	v_fmamk_f16 v130, v47, 0x3b15, v84
	v_fma_f16 v84, v47, 0x3b15, -v84
	v_fmamk_f16 v131, v47, 0x388b, v85
	v_fma_f16 v85, v47, 0x388b, -v85
	v_fmamk_f16 v132, v47, 0xb9fd, v49
	v_fma_f16 v47, v47, 0xb9fd, -v49
	v_fma_f16 v49, v51, 0xb5ac, -v86
	v_fmac_f16_e32 v86, 0xb5ac, v51
	v_fma_f16 v133, v51, 0xb9fd, -v87
	v_fmac_f16_e32 v87, 0xb9fd, v51
	;; [unrolled: 2-line block ×6, first 2 shown]
	v_fmamk_f16 v51, v53, 0xb5ac, v91
	v_fmamk_f16 v139, v53, 0x3b15, v93
	v_fma_f16 v93, v53, 0x3b15, -v93
	v_add_f16_e32 v106, v106, v28
	v_add_f16_sdwa v107, v107, v28 dst_sel:DWORD dst_unused:UNUSED_PAD src0_sel:DWORD src1_sel:WORD_1
	v_add_f16_e32 v108, v108, v28
	v_add_f16_sdwa v109, v109, v28 dst_sel:DWORD dst_unused:UNUSED_PAD src0_sel:DWORD src1_sel:WORD_1
	;; [unrolled: 2-line block ×6, first 2 shown]
	v_add_f16_sdwa v28, v34, v28 dst_sel:DWORD dst_unused:UNUSED_PAD src0_sel:DWORD src1_sel:WORD_1
	v_add_f16_e32 v41, v67, v41
	v_add_f16_e32 v58, v68, v58
	;; [unrolled: 1-line block ×13, first 2 shown]
	v_mul_f16_e32 v99, 0x3bf1, v56
	v_mul_f16_e32 v100, 0xba95, v55
	;; [unrolled: 1-line block ×4, first 2 shown]
	v_fma_f16 v91, v53, 0xb5ac, -v91
	v_fmamk_f16 v138, v53, 0xb9fd, v92
	v_fma_f16 v92, v53, 0xb9fd, -v92
	v_fmamk_f16 v140, v53, 0x2fb7, v94
	;; [unrolled: 2-line block ×4, first 2 shown]
	v_fma_f16 v52, v53, 0x388b, -v52
	v_fma_f16 v53, v54, 0xb9fd, -v96
	v_fmamk_f16 v33, v57, 0xb9fd, v97
	v_fmac_f16_e32 v96, 0xb9fd, v54
	v_fmamk_f16 v105, v57, 0x388b, v101
	v_fma_f16 v101, v57, 0x388b, -v101
	v_add_f16_e32 v42, v42, v106
	v_add_f16_e32 v67, v120, v107
	;; [unrolled: 1-line block ×17, first 2 shown]
	v_fmamk_f16 v34, v57, 0x2fb7, v99
	v_fma_f16 v99, v57, 0x2fb7, -v99
	v_fma_f16 v104, v54, 0x388b, -v100
	v_fmac_f16_e32 v100, 0x388b, v54
	v_fma_f16 v66, v54, 0xbbc4, -v102
	v_add_f16_e32 v37, v125, v42
	v_add_f16_e32 v38, v46, v67
	;; [unrolled: 1-line block ×16, first 2 shown]
	v_fmamk_f16 v35, v57, 0xbbc4, v103
	v_fmac_f16_e32 v102, 0xbbc4, v54
	v_sub_f16_e32 v45, v9, v10
	v_add_f16_e32 v38, v138, v38
	v_add_f16_e32 v42, v139, v42
	;; [unrolled: 1-line block ×9, first 2 shown]
	v_mul_f16_e32 v44, 0xbb7b, v56
	v_add_f16_e32 v47, v11, v12
	v_mul_f16_e32 v48, 0xb3a8, v45
	v_sub_f16_e32 v11, v11, v12
	v_mul_f16_e32 v98, 0x3bf1, v55
	v_add_f16_e32 v65, v75, v65
	v_add_f16_e32 v75, v124, v115
	;; [unrolled: 1-line block ×7, first 2 shown]
	v_mul_f16_e32 v42, 0xbb7b, v55
	v_fmamk_f16 v46, v57, 0xb5ac, v44
	v_fma_f16 v12, v57, 0xb5ac, -v44
	v_add_f16_e32 v9, v9, v10
	v_fma_f16 v10, v47, 0xbbc4, -v48
	v_mul_f16_e32 v44, 0xb3a8, v11
	v_fma_f16 v97, v57, 0xb9fd, -v97
	v_fma_f16 v32, v54, 0x2fb7, -v98
	v_add_f16_e32 v68, v116, v108
	v_add_f16_e32 v67, v132, v75
	;; [unrolled: 1-line block ×5, first 2 shown]
	v_fma_f16 v43, v54, 0xb5ac, -v42
	v_fmac_f16_e32 v42, 0xb5ac, v54
	v_add_f16_e32 v12, v12, v28
	v_add_f16_e32 v10, v10, v17
	v_fmamk_f16 v17, v9, 0xbbc4, v44
	v_mul_f16_e32 v28, 0x3770, v45
	v_add_f16_e32 v41, v126, v68
	v_add_f16_e32 v27, v142, v67
	v_add_f16_e32 v14, v97, v36
	v_add_f16_e32 v25, v32, v37
	v_add_f16_e32 v29, v42, v29
	v_fma_f16 v42, v9, 0xbbc4, -v44
	v_mul_f16_e32 v44, 0x3770, v11
	v_add_f16_e32 v17, v17, v26
	v_fma_f16 v26, v47, 0x3b15, -v28
	v_fmac_f16_e32 v98, 0x2fb7, v54
	v_add_f16_e32 v39, v87, v39
	v_add_f16_e32 v41, v134, v41
	v_add_f16_e32 v27, v46, v27
	v_add_f16_e32 v14, v42, v14
	v_fmamk_f16 v42, v9, 0x3b15, v44
	v_mul_f16_e32 v46, 0xb94e, v45
	v_add_f16_e32 v25, v26, v25
	v_fma_f16 v26, v9, 0x3b15, -v44
	v_add_f16_e32 v72, v118, v112
	v_add_f16_e32 v15, v98, v39
	;; [unrolled: 1-line block ×3, first 2 shown]
	v_fmac_f16_e32 v48, 0xbbc4, v47
	v_fmac_f16_e32 v28, 0x3b15, v47
	v_add_f16_e32 v31, v42, v31
	v_fma_f16 v42, v47, 0xb9fd, -v46
	v_mul_f16_e32 v44, 0xb94e, v11
	v_add_f16_e32 v24, v26, v24
	v_mul_f16_e32 v26, 0x3a95, v45
	v_add_f16_e32 v63, v73, v63
	v_add_f16_e32 v73, v123, v113
	;; [unrolled: 1-line block ×4, first 2 shown]
	v_mul_f16_e32 v36, 0x3770, v55
	v_add_f16_e32 v30, v48, v30
	v_add_f16_e32 v15, v28, v15
	;; [unrolled: 1-line block ×3, first 2 shown]
	v_fmamk_f16 v32, v9, 0xb9fd, v44
	v_fma_f16 v42, v9, 0xb9fd, -v44
	v_fma_f16 v44, v47, 0x388b, -v26
	v_mul_f16_e32 v48, 0x3a95, v11
	v_add_f16_e32 v60, v84, v63
	v_add_f16_e32 v62, v131, v73
	v_mul_f16_e32 v37, 0x3770, v56
	v_fmac_f16_e32 v46, 0xb9fd, v47
	v_add_f16_e32 v74, v119, v114
	v_add_f16_e32 v63, v80, v64
	v_add_f16_e32 v51, v136, v61
	v_fma_f16 v39, v54, 0x3b15, -v36
	v_add_f16_e32 v16, v32, v16
	v_add_f16_e32 v32, v42, v33
	;; [unrolled: 1-line block ×3, first 2 shown]
	v_fmamk_f16 v34, v9, 0x388b, v48
	v_mul_f16_e32 v42, 0xbb7b, v45
	v_add_f16_e32 v49, v94, v60
	v_add_f16_e32 v58, v141, v62
	v_fma_f16 v38, v57, 0xbbc4, -v103
	v_fmamk_f16 v41, v57, 0x3b15, v37
	v_add_f16_e32 v19, v46, v19
	v_fmac_f16_e32 v26, 0x388b, v47
	v_mul_f16_e32 v46, 0xbb7b, v11
	v_add_f16_e32 v64, v85, v65
	v_add_f16_e32 v65, v129, v74
	;; [unrolled: 1-line block ×4, first 2 shown]
	v_fmac_f16_e32 v36, 0x3b15, v54
	v_add_f16_e32 v34, v34, v35
	v_fma_f16 v35, v47, 0xb5ac, -v42
	v_add_f16_e32 v38, v38, v49
	v_add_f16_e32 v41, v41, v58
	v_fma_f16 v44, v9, 0x388b, -v48
	v_add_f16_e32 v26, v26, v40
	v_fmamk_f16 v40, v9, 0xb5ac, v46
	v_mul_f16_e32 v11, 0x3bf1, v11
	v_add_f16_e32 v60, v95, v64
	v_add_f16_e32 v61, v137, v65
	v_fma_f16 v37, v57, 0x3b15, -v37
	v_add_f16_e32 v36, v36, v59
	v_fmac_f16_e32 v42, 0xb5ac, v47
	v_add_f16_e32 v35, v35, v39
	v_mul_f16_e32 v39, 0x3bf1, v45
	v_add_f16_e32 v38, v44, v38
	v_add_f16_e32 v40, v40, v41
	v_fma_f16 v41, v9, 0xb5ac, -v46
	v_fmamk_f16 v44, v9, 0x2fb7, v11
	v_fma_f16 v9, v9, 0x2fb7, -v11
	v_add_f16_e32 v37, v37, v60
	v_add_f16_e32 v43, v43, v61
	;; [unrolled: 1-line block ×3, first 2 shown]
	v_fma_f16 v42, v47, 0x2fb7, -v39
	v_fmac_f16_e32 v39, 0x2fb7, v47
	v_add_f16_e32 v9, v9, v12
	v_pack_b32_f16 v12, v18, v13
	v_pack_b32_f16 v10, v10, v17
	v_add_f16_e32 v11, v41, v37
	v_add_f16_e32 v37, v42, v43
	;; [unrolled: 1-line block ×4, first 2 shown]
	v_pack_b32_f16 v13, v25, v31
	v_pack_b32_f16 v16, v28, v16
	ds_write2_b32 v1, v12, v10 offset1:78
	ds_write2_b32 v1, v13, v16 offset0:156 offset1:234
	v_pack_b32_f16 v10, v33, v34
	v_pack_b32_f16 v12, v35, v40
	;; [unrolled: 1-line block ×4, first 2 shown]
	v_add_nc_u32_e32 v16, 0x600, v1
	v_pack_b32_f16 v11, v36, v11
	v_pack_b32_f16 v17, v26, v38
	;; [unrolled: 1-line block ×5, first 2 shown]
	ds_write2_b32 v6, v10, v12 offset0:56 offset1:134
	ds_write2_b32 v16, v13, v9 offset0:84 offset1:162
	;; [unrolled: 1-line block ×4, first 2 shown]
	ds_write_b32 v1, v14 offset:3744
	s_waitcnt lgkmcnt(0)
	s_barrier
	buffer_gl0_inv
	ds_read_b32 v6, v20
	v_sub_nc_u32_e32 v9, v21, v22
                                        ; implicit-def: $vgpr12
                                        ; implicit-def: $vgpr10
                                        ; implicit-def: $vgpr11
                                        ; implicit-def: $vgpr7_vgpr8
	v_cmpx_ne_u32_e32 0, v0
	s_xor_b32 s5, exec_lo, s5
	s_cbranch_execz .LBB0_19
; %bb.18:
	v_mov_b32_e32 v1, 0
	v_lshlrev_b64 v[7:8], 2, v[0:1]
	v_add_co_u32 v7, s0, s1, v7
	v_add_co_ci_u32_e64 v8, s0, s4, v8, s0
	global_load_dword v7, v[7:8], off
	ds_read_b32 v8, v9 offset:4056
	s_waitcnt lgkmcnt(0)
	v_sub_f16_e32 v10, v6, v8
	v_add_f16_sdwa v11, v8, v6 dst_sel:DWORD dst_unused:UNUSED_PAD src0_sel:WORD_1 src1_sel:WORD_1
	v_sub_f16_sdwa v12, v6, v8 dst_sel:DWORD dst_unused:UNUSED_PAD src0_sel:WORD_1 src1_sel:WORD_1
	v_add_f16_e32 v6, v8, v6
	v_mul_f16_e32 v13, 0.5, v10
	v_mul_f16_e32 v8, 0.5, v11
	v_mul_f16_e32 v11, 0.5, v12
	s_waitcnt vmcnt(0)
	v_lshrrev_b32_e32 v10, 16, v7
	v_mul_f16_e32 v12, v10, v13
	v_fma_f16 v14, v8, v10, v11
	v_fma_f16 v15, 0.5, v6, v12
	v_fma_f16 v6, v6, 0.5, -v12
	v_fma_f16 v12, v8, v10, -v11
	v_fma_f16 v11, -v7, v13, v14
	v_fmac_f16_e32 v15, v7, v8
	v_fma_f16 v10, -v7, v8, v6
	v_fma_f16 v12, -v7, v13, v12
	v_mov_b32_e32 v8, v1
	v_mov_b32_e32 v7, v0
	ds_write_b16 v20, v15
                                        ; implicit-def: $vgpr6
.LBB0_19:
	s_andn2_saveexec_b32 s0, s5
	s_cbranch_execz .LBB0_21
; %bb.20:
	ds_read_u16 v1, v21 offset:2030
	v_mov_b32_e32 v7, 0
	s_waitcnt lgkmcnt(1)
	v_add_f16_sdwa v13, v6, v6 dst_sel:DWORD dst_unused:UNUSED_PAD src0_sel:WORD_1 src1_sel:DWORD
	v_sub_f16_sdwa v10, v6, v6 dst_sel:DWORD dst_unused:UNUSED_PAD src0_sel:DWORD src1_sel:WORD_1
	v_mov_b32_e32 v8, 0
	v_mov_b32_e32 v11, 0
	;; [unrolled: 1-line block ×3, first 2 shown]
	s_waitcnt lgkmcnt(0)
	v_xor_b32_e32 v1, 0x8000, v1
	ds_write_b16 v20, v13
	ds_write_b16 v21, v1 offset:2030
.LBB0_21:
	s_or_b32 exec_lo, exec_lo, s0
	s_waitcnt lgkmcnt(0)
	v_mov_b32_e32 v6, 0
	v_perm_b32 v10, v12, v10, 0x5040100
	v_lshlrev_b64 v[13:14], 2, v[5:6]
	v_mov_b32_e32 v5, v6
	v_lshlrev_b64 v[5:6], 2, v[4:5]
	v_add_co_u32 v13, s0, s1, v13
	v_add_co_ci_u32_e64 v14, s0, s4, v14, s0
	v_lshl_add_u32 v4, v4, 2, v21
	v_add_co_u32 v5, s0, s1, v5
	global_load_dword v1, v[13:14], off
	v_add_co_ci_u32_e64 v6, s0, s4, v6, s0
	global_load_dword v13, v[5:6], off
	v_lshlrev_b64 v[5:6], 2, v[7:8]
	v_add_co_u32 v7, s0, s1, v5
	v_add_co_ci_u32_e64 v8, s0, s4, v6, s0
	s_clause 0x2
	global_load_dword v14, v[7:8], off offset:936
	global_load_dword v15, v[7:8], off offset:1248
	;; [unrolled: 1-line block ×3, first 2 shown]
	ds_write_b16 v20, v11 offset:2
	ds_write_b32 v9, v10 offset:4056
	ds_read_b32 v10, v23
	ds_read_b32 v11, v9 offset:3744
	s_mov_b32 s1, exec_lo
	s_waitcnt lgkmcnt(0)
	v_pk_add_f16 v12, v10, v11 neg_lo:[0,1] neg_hi:[0,1]
	v_pk_add_f16 v10, v10, v11
	v_bfi_b32 v11, 0xffff, v12, v10
	v_bfi_b32 v10, 0xffff, v10, v12
	v_pk_mul_f16 v11, v11, 0.5 op_sel_hi:[1,0]
	v_pk_mul_f16 v10, v10, 0.5 op_sel_hi:[1,0]
	s_waitcnt vmcnt(4)
	v_pk_fma_f16 v12, v1, v11, v10 op_sel:[1,0,0]
	v_pk_mul_f16 v17, v1, v11 op_sel_hi:[0,1]
	v_pk_fma_f16 v18, v1, v11, v10 op_sel:[1,0,0] neg_lo:[1,0,0] neg_hi:[1,0,0]
	v_pk_fma_f16 v1, v1, v11, v10 op_sel:[1,0,0] neg_lo:[0,0,1] neg_hi:[0,0,1]
	v_pk_add_f16 v10, v12, v17 op_sel:[0,1] op_sel_hi:[1,0]
	v_pk_add_f16 v11, v12, v17 op_sel:[0,1] op_sel_hi:[1,0] neg_lo:[0,1] neg_hi:[0,1]
	v_pk_add_f16 v12, v18, v17 op_sel:[0,1] op_sel_hi:[1,0] neg_lo:[0,1] neg_hi:[0,1]
	;; [unrolled: 1-line block ×3, first 2 shown]
	v_bfi_b32 v10, 0xffff, v10, v11
	v_bfi_b32 v1, 0xffff, v12, v1
	ds_write_b32 v23, v10
	ds_write_b32 v9, v1 offset:3744
	ds_read_b32 v1, v4
	ds_read_b32 v10, v9 offset:3432
	s_waitcnt lgkmcnt(0)
	v_pk_add_f16 v11, v1, v10 neg_lo:[0,1] neg_hi:[0,1]
	v_pk_add_f16 v1, v1, v10
	v_bfi_b32 v10, 0xffff, v11, v1
	v_bfi_b32 v1, 0xffff, v1, v11
	v_pk_mul_f16 v10, v10, 0.5 op_sel_hi:[1,0]
	v_pk_mul_f16 v1, v1, 0.5 op_sel_hi:[1,0]
	s_waitcnt vmcnt(3)
	v_pk_mul_f16 v12, v13, v10 op_sel_hi:[0,1]
	v_pk_fma_f16 v11, v13, v10, v1 op_sel:[1,0,0]
	v_pk_fma_f16 v17, v13, v10, v1 op_sel:[1,0,0] neg_lo:[1,0,0] neg_hi:[1,0,0]
	v_pk_fma_f16 v1, v13, v10, v1 op_sel:[1,0,0] neg_lo:[0,0,1] neg_hi:[0,0,1]
	v_pk_add_f16 v10, v11, v12 op_sel:[0,1] op_sel_hi:[1,0]
	v_pk_add_f16 v11, v11, v12 op_sel:[0,1] op_sel_hi:[1,0] neg_lo:[0,1] neg_hi:[0,1]
	v_pk_add_f16 v13, v17, v12 op_sel:[0,1] op_sel_hi:[1,0] neg_lo:[0,1] neg_hi:[0,1]
	;; [unrolled: 1-line block ×3, first 2 shown]
	v_bfi_b32 v10, 0xffff, v10, v11
	v_bfi_b32 v1, 0xffff, v13, v1
	ds_write_b32 v4, v10
	ds_write_b32 v9, v1 offset:3432
	ds_read_b32 v1, v20 offset:936
	ds_read_b32 v4, v9 offset:3120
	s_waitcnt lgkmcnt(0)
	v_pk_add_f16 v10, v1, v4 neg_lo:[0,1] neg_hi:[0,1]
	v_pk_add_f16 v1, v1, v4
	v_bfi_b32 v4, 0xffff, v10, v1
	v_bfi_b32 v1, 0xffff, v1, v10
	v_pk_mul_f16 v4, v4, 0.5 op_sel_hi:[1,0]
	v_pk_mul_f16 v1, v1, 0.5 op_sel_hi:[1,0]
	s_waitcnt vmcnt(2)
	v_pk_mul_f16 v11, v14, v4 op_sel_hi:[0,1]
	v_pk_fma_f16 v10, v14, v4, v1 op_sel:[1,0,0]
	v_pk_fma_f16 v12, v14, v4, v1 op_sel:[1,0,0] neg_lo:[1,0,0] neg_hi:[1,0,0]
	v_pk_fma_f16 v1, v14, v4, v1 op_sel:[1,0,0] neg_lo:[0,0,1] neg_hi:[0,0,1]
	v_pk_add_f16 v4, v10, v11 op_sel:[0,1] op_sel_hi:[1,0]
	v_pk_add_f16 v10, v10, v11 op_sel:[0,1] op_sel_hi:[1,0] neg_lo:[0,1] neg_hi:[0,1]
	v_pk_add_f16 v12, v12, v11 op_sel:[0,1] op_sel_hi:[1,0] neg_lo:[0,1] neg_hi:[0,1]
	v_pk_add_f16 v1, v1, v11 op_sel:[0,1] op_sel_hi:[1,0] neg_lo:[0,1] neg_hi:[0,1]
	v_bfi_b32 v4, 0xffff, v4, v10
	v_bfi_b32 v1, 0xffff, v12, v1
	ds_write_b32 v20, v4 offset:936
	ds_write_b32 v9, v1 offset:3120
	ds_read_b32 v1, v20 offset:1248
	ds_read_b32 v4, v9 offset:2808
	s_waitcnt lgkmcnt(0)
	v_pk_add_f16 v10, v1, v4 neg_lo:[0,1] neg_hi:[0,1]
	v_pk_add_f16 v1, v1, v4
	v_bfi_b32 v4, 0xffff, v10, v1
	v_bfi_b32 v1, 0xffff, v1, v10
	v_pk_mul_f16 v4, v4, 0.5 op_sel_hi:[1,0]
	v_pk_mul_f16 v1, v1, 0.5 op_sel_hi:[1,0]
	s_waitcnt vmcnt(1)
	v_pk_mul_f16 v11, v15, v4 op_sel_hi:[0,1]
	v_pk_fma_f16 v10, v15, v4, v1 op_sel:[1,0,0]
	v_pk_fma_f16 v12, v15, v4, v1 op_sel:[1,0,0] neg_lo:[1,0,0] neg_hi:[1,0,0]
	v_pk_fma_f16 v1, v15, v4, v1 op_sel:[1,0,0] neg_lo:[0,0,1] neg_hi:[0,0,1]
	v_pk_add_f16 v4, v10, v11 op_sel:[0,1] op_sel_hi:[1,0]
	v_pk_add_f16 v10, v10, v11 op_sel:[0,1] op_sel_hi:[1,0] neg_lo:[0,1] neg_hi:[0,1]
	v_pk_add_f16 v12, v12, v11 op_sel:[0,1] op_sel_hi:[1,0] neg_lo:[0,1] neg_hi:[0,1]
	v_pk_add_f16 v1, v1, v11 op_sel:[0,1] op_sel_hi:[1,0] neg_lo:[0,1] neg_hi:[0,1]
	v_bfi_b32 v4, 0xffff, v4, v10
	v_bfi_b32 v1, 0xffff, v12, v1
	ds_write_b32 v20, v4 offset:1248
	;; [unrolled: 22-line block ×3, first 2 shown]
	ds_write_b32 v9, v1 offset:2496
	v_cmpx_gt_u32_e32 39, v0
	s_cbranch_execz .LBB0_23
; %bb.22:
	global_load_dword v1, v[7:8], off offset:1872
	ds_read_b32 v4, v20 offset:1872
	ds_read_b32 v7, v9 offset:2184
	s_waitcnt lgkmcnt(0)
	v_pk_add_f16 v8, v4, v7 neg_lo:[0,1] neg_hi:[0,1]
	v_pk_add_f16 v4, v4, v7
	v_bfi_b32 v7, 0xffff, v8, v4
	v_bfi_b32 v4, 0xffff, v4, v8
	v_pk_mul_f16 v7, v7, 0.5 op_sel_hi:[1,0]
	v_pk_mul_f16 v4, v4, 0.5 op_sel_hi:[1,0]
	s_waitcnt vmcnt(0)
	v_pk_fma_f16 v8, v1, v7, v4 op_sel:[1,0,0]
	v_pk_mul_f16 v10, v1, v7 op_sel_hi:[0,1]
	v_pk_fma_f16 v11, v1, v7, v4 op_sel:[1,0,0] neg_lo:[1,0,0] neg_hi:[1,0,0]
	v_pk_fma_f16 v1, v1, v7, v4 op_sel:[1,0,0] neg_lo:[0,0,1] neg_hi:[0,0,1]
	v_pk_add_f16 v4, v8, v10 op_sel:[0,1] op_sel_hi:[1,0]
	v_pk_add_f16 v7, v8, v10 op_sel:[0,1] op_sel_hi:[1,0] neg_lo:[0,1] neg_hi:[0,1]
	v_pk_add_f16 v8, v11, v10 op_sel:[0,1] op_sel_hi:[1,0] neg_lo:[0,1] neg_hi:[0,1]
	;; [unrolled: 1-line block ×3, first 2 shown]
	v_bfi_b32 v4, 0xffff, v4, v7
	v_bfi_b32 v1, 0xffff, v8, v1
	ds_write_b32 v20, v4 offset:1872
	ds_write_b32 v9, v1 offset:2184
.LBB0_23:
	s_or_b32 exec_lo, exec_lo, s1
	s_waitcnt lgkmcnt(0)
	s_barrier
	buffer_gl0_inv
	s_and_saveexec_b32 s0, vcc_lo
	s_cbranch_execz .LBB0_26
; %bb.24:
	ds_read2_b32 v[7:8], v20 offset1:78
	ds_read2_b32 v[9:10], v20 offset0:156 offset1:234
	v_add_nc_u32_e32 v4, 0x400, v20
	v_add_nc_u32_e32 v15, 0xc00, v20
	;; [unrolled: 1-line block ×4, first 2 shown]
	v_add_co_u32 v1, vcc_lo, s2, v2
	v_add_co_ci_u32_e32 v2, vcc_lo, s3, v3, vcc_lo
	ds_read2_b32 v[3:4], v4 offset0:56 offset1:134
	ds_read2_b32 v[11:12], v11 offset0:84 offset1:162
	;; [unrolled: 1-line block ×4, first 2 shown]
	ds_read_b32 v17, v20 offset:3744
	v_add_co_u32 v5, vcc_lo, v1, v5
	v_add_co_ci_u32_e32 v6, vcc_lo, v2, v6, vcc_lo
	s_waitcnt lgkmcnt(6)
	global_store_dword v[5:6], v7, off
	global_store_dword v[5:6], v8, off offset:312
	s_waitcnt lgkmcnt(5)
	global_store_dword v[5:6], v9, off offset:624
	v_add_co_u32 v7, vcc_lo, 0x800, v5
	v_add_co_ci_u32_e32 v8, vcc_lo, 0, v6, vcc_lo
	v_cmp_eq_u32_e32 vcc_lo, 0x4d, v0
	global_store_dword v[5:6], v10, off offset:936
	s_waitcnt lgkmcnt(4)
	global_store_dword v[5:6], v3, off offset:1248
	global_store_dword v[5:6], v4, off offset:1560
	s_waitcnt lgkmcnt(3)
	global_store_dword v[5:6], v11, off offset:1872
	global_store_dword v[7:8], v12, off offset:136
	s_waitcnt lgkmcnt(2)
	global_store_dword v[7:8], v13, off offset:448
	global_store_dword v[7:8], v14, off offset:760
	s_waitcnt lgkmcnt(1)
	global_store_dword v[7:8], v15, off offset:1072
	global_store_dword v[7:8], v16, off offset:1384
	s_waitcnt lgkmcnt(0)
	global_store_dword v[7:8], v17, off offset:1696
	s_and_b32 exec_lo, exec_lo, vcc_lo
	s_cbranch_execz .LBB0_26
; %bb.25:
	ds_read_b32 v3, v20 offset:3748
	v_add_co_u32 v0, vcc_lo, 0x800, v1
	v_add_co_ci_u32_e32 v1, vcc_lo, 0, v2, vcc_lo
	s_waitcnt lgkmcnt(0)
	global_store_dword v[0:1], v3, off offset:2008
.LBB0_26:
	s_endpgm
	.section	.rodata,"a",@progbits
	.p2align	6, 0x0
	.amdhsa_kernel fft_rtc_fwd_len1014_factors_13_6_13_wgs_156_tpt_78_half_ip_CI_unitstride_sbrr_R2C_dirReg
		.amdhsa_group_segment_fixed_size 0
		.amdhsa_private_segment_fixed_size 0
		.amdhsa_kernarg_size 88
		.amdhsa_user_sgpr_count 6
		.amdhsa_user_sgpr_private_segment_buffer 1
		.amdhsa_user_sgpr_dispatch_ptr 0
		.amdhsa_user_sgpr_queue_ptr 0
		.amdhsa_user_sgpr_kernarg_segment_ptr 1
		.amdhsa_user_sgpr_dispatch_id 0
		.amdhsa_user_sgpr_flat_scratch_init 0
		.amdhsa_user_sgpr_private_segment_size 0
		.amdhsa_wavefront_size32 1
		.amdhsa_uses_dynamic_stack 0
		.amdhsa_system_sgpr_private_segment_wavefront_offset 0
		.amdhsa_system_sgpr_workgroup_id_x 1
		.amdhsa_system_sgpr_workgroup_id_y 0
		.amdhsa_system_sgpr_workgroup_id_z 0
		.amdhsa_system_sgpr_workgroup_info 0
		.amdhsa_system_vgpr_workitem_id 0
		.amdhsa_next_free_vgpr 143
		.amdhsa_next_free_sgpr 21
		.amdhsa_reserve_vcc 1
		.amdhsa_reserve_flat_scratch 0
		.amdhsa_float_round_mode_32 0
		.amdhsa_float_round_mode_16_64 0
		.amdhsa_float_denorm_mode_32 3
		.amdhsa_float_denorm_mode_16_64 3
		.amdhsa_dx10_clamp 1
		.amdhsa_ieee_mode 1
		.amdhsa_fp16_overflow 0
		.amdhsa_workgroup_processor_mode 1
		.amdhsa_memory_ordered 1
		.amdhsa_forward_progress 0
		.amdhsa_shared_vgpr_count 0
		.amdhsa_exception_fp_ieee_invalid_op 0
		.amdhsa_exception_fp_denorm_src 0
		.amdhsa_exception_fp_ieee_div_zero 0
		.amdhsa_exception_fp_ieee_overflow 0
		.amdhsa_exception_fp_ieee_underflow 0
		.amdhsa_exception_fp_ieee_inexact 0
		.amdhsa_exception_int_div_zero 0
	.end_amdhsa_kernel
	.text
.Lfunc_end0:
	.size	fft_rtc_fwd_len1014_factors_13_6_13_wgs_156_tpt_78_half_ip_CI_unitstride_sbrr_R2C_dirReg, .Lfunc_end0-fft_rtc_fwd_len1014_factors_13_6_13_wgs_156_tpt_78_half_ip_CI_unitstride_sbrr_R2C_dirReg
                                        ; -- End function
	.section	.AMDGPU.csdata,"",@progbits
; Kernel info:
; codeLenInByte = 12208
; NumSgprs: 23
; NumVgprs: 143
; ScratchSize: 0
; MemoryBound: 0
; FloatMode: 240
; IeeeMode: 1
; LDSByteSize: 0 bytes/workgroup (compile time only)
; SGPRBlocks: 2
; VGPRBlocks: 17
; NumSGPRsForWavesPerEU: 23
; NumVGPRsForWavesPerEU: 143
; Occupancy: 7
; WaveLimiterHint : 1
; COMPUTE_PGM_RSRC2:SCRATCH_EN: 0
; COMPUTE_PGM_RSRC2:USER_SGPR: 6
; COMPUTE_PGM_RSRC2:TRAP_HANDLER: 0
; COMPUTE_PGM_RSRC2:TGID_X_EN: 1
; COMPUTE_PGM_RSRC2:TGID_Y_EN: 0
; COMPUTE_PGM_RSRC2:TGID_Z_EN: 0
; COMPUTE_PGM_RSRC2:TIDIG_COMP_CNT: 0
	.text
	.p2alignl 6, 3214868480
	.fill 48, 4, 3214868480
	.type	__hip_cuid_2db2a804b41c3775,@object ; @__hip_cuid_2db2a804b41c3775
	.section	.bss,"aw",@nobits
	.globl	__hip_cuid_2db2a804b41c3775
__hip_cuid_2db2a804b41c3775:
	.byte	0                               ; 0x0
	.size	__hip_cuid_2db2a804b41c3775, 1

	.ident	"AMD clang version 19.0.0git (https://github.com/RadeonOpenCompute/llvm-project roc-6.4.0 25133 c7fe45cf4b819c5991fe208aaa96edf142730f1d)"
	.section	".note.GNU-stack","",@progbits
	.addrsig
	.addrsig_sym __hip_cuid_2db2a804b41c3775
	.amdgpu_metadata
---
amdhsa.kernels:
  - .args:
      - .actual_access:  read_only
        .address_space:  global
        .offset:         0
        .size:           8
        .value_kind:     global_buffer
      - .offset:         8
        .size:           8
        .value_kind:     by_value
      - .actual_access:  read_only
        .address_space:  global
        .offset:         16
        .size:           8
        .value_kind:     global_buffer
      - .actual_access:  read_only
        .address_space:  global
        .offset:         24
        .size:           8
        .value_kind:     global_buffer
      - .offset:         32
        .size:           8
        .value_kind:     by_value
      - .actual_access:  read_only
        .address_space:  global
        .offset:         40
        .size:           8
        .value_kind:     global_buffer
      - .actual_access:  read_only
        .address_space:  global
        .offset:         48
        .size:           8
        .value_kind:     global_buffer
      - .offset:         56
        .size:           4
        .value_kind:     by_value
      - .actual_access:  read_only
        .address_space:  global
        .offset:         64
        .size:           8
        .value_kind:     global_buffer
      - .actual_access:  read_only
        .address_space:  global
        .offset:         72
        .size:           8
        .value_kind:     global_buffer
      - .address_space:  global
        .offset:         80
        .size:           8
        .value_kind:     global_buffer
    .group_segment_fixed_size: 0
    .kernarg_segment_align: 8
    .kernarg_segment_size: 88
    .language:       OpenCL C
    .language_version:
      - 2
      - 0
    .max_flat_workgroup_size: 156
    .name:           fft_rtc_fwd_len1014_factors_13_6_13_wgs_156_tpt_78_half_ip_CI_unitstride_sbrr_R2C_dirReg
    .private_segment_fixed_size: 0
    .sgpr_count:     23
    .sgpr_spill_count: 0
    .symbol:         fft_rtc_fwd_len1014_factors_13_6_13_wgs_156_tpt_78_half_ip_CI_unitstride_sbrr_R2C_dirReg.kd
    .uniform_work_group_size: 1
    .uses_dynamic_stack: false
    .vgpr_count:     143
    .vgpr_spill_count: 0
    .wavefront_size: 32
    .workgroup_processor_mode: 1
amdhsa.target:   amdgcn-amd-amdhsa--gfx1030
amdhsa.version:
  - 1
  - 2
...

	.end_amdgpu_metadata
